;; amdgpu-corpus repo=ROCm/rocSPARSE kind=compiled arch=gfx1100 opt=O3
	.text
	.amdgcn_target "amdgcn-amd-amdhsa--gfx1100"
	.amdhsa_code_object_version 6
	.section	.text._ZN9rocsparseL19check_row_ptr_arrayILj256EiiEEvT1_PKT0_P22rocsparse_data_status_,"axG",@progbits,_ZN9rocsparseL19check_row_ptr_arrayILj256EiiEEvT1_PKT0_P22rocsparse_data_status_,comdat
	.globl	_ZN9rocsparseL19check_row_ptr_arrayILj256EiiEEvT1_PKT0_P22rocsparse_data_status_ ; -- Begin function _ZN9rocsparseL19check_row_ptr_arrayILj256EiiEEvT1_PKT0_P22rocsparse_data_status_
	.p2align	8
	.type	_ZN9rocsparseL19check_row_ptr_arrayILj256EiiEEvT1_PKT0_P22rocsparse_data_status_,@function
_ZN9rocsparseL19check_row_ptr_arrayILj256EiiEEvT1_PKT0_P22rocsparse_data_status_: ; @_ZN9rocsparseL19check_row_ptr_arrayILj256EiiEEvT1_PKT0_P22rocsparse_data_status_
; %bb.0:
	s_load_b32 s2, s[0:1], 0x0
	v_lshl_or_b32 v0, s15, 8, v0
	s_waitcnt lgkmcnt(0)
	s_delay_alu instid0(VALU_DEP_1)
	v_cmp_gt_i32_e32 vcc_lo, s2, v0
	s_and_saveexec_b32 s2, vcc_lo
	s_cbranch_execz .LBB0_3
; %bb.1:
	s_load_b64 s[2:3], s[0:1], 0x8
	v_ashrrev_i32_e32 v1, 31, v0
	s_delay_alu instid0(VALU_DEP_1) | instskip(SKIP_1) | instid1(VALU_DEP_1)
	v_lshlrev_b64 v[0:1], 2, v[0:1]
	s_waitcnt lgkmcnt(0)
	v_add_co_u32 v0, vcc_lo, s2, v0
	s_delay_alu instid0(VALU_DEP_2)
	v_add_co_ci_u32_e32 v1, vcc_lo, s3, v1, vcc_lo
	s_load_b32 s2, s[2:3], 0x0
	global_load_b64 v[0:1], v[0:1], off
	s_waitcnt vmcnt(0) lgkmcnt(0)
	v_max_i32_e32 v2, s2, v0
	v_cmp_gt_i32_e32 vcc_lo, s2, v0
	s_delay_alu instid0(VALU_DEP_2) | instskip(NEXT) | instid1(VALU_DEP_1)
	v_cmp_gt_i32_e64 s2, v2, v1
	s_or_b32 s2, vcc_lo, s2
	s_delay_alu instid0(SALU_CYCLE_1)
	s_and_b32 exec_lo, exec_lo, s2
	s_cbranch_execz .LBB0_3
; %bb.2:
	s_load_b64 s[0:1], s[0:1], 0x10
	v_dual_mov_b32 v0, 0 :: v_dual_mov_b32 v1, 3
	s_waitcnt lgkmcnt(0)
	global_store_b32 v0, v1, s[0:1]
.LBB0_3:
	s_nop 0
	s_sendmsg sendmsg(MSG_DEALLOC_VGPRS)
	s_endpgm
	.section	.rodata,"a",@progbits
	.p2align	6, 0x0
	.amdhsa_kernel _ZN9rocsparseL19check_row_ptr_arrayILj256EiiEEvT1_PKT0_P22rocsparse_data_status_
		.amdhsa_group_segment_fixed_size 0
		.amdhsa_private_segment_fixed_size 0
		.amdhsa_kernarg_size 24
		.amdhsa_user_sgpr_count 15
		.amdhsa_user_sgpr_dispatch_ptr 0
		.amdhsa_user_sgpr_queue_ptr 0
		.amdhsa_user_sgpr_kernarg_segment_ptr 1
		.amdhsa_user_sgpr_dispatch_id 0
		.amdhsa_user_sgpr_private_segment_size 0
		.amdhsa_wavefront_size32 1
		.amdhsa_uses_dynamic_stack 0
		.amdhsa_enable_private_segment 0
		.amdhsa_system_sgpr_workgroup_id_x 1
		.amdhsa_system_sgpr_workgroup_id_y 0
		.amdhsa_system_sgpr_workgroup_id_z 0
		.amdhsa_system_sgpr_workgroup_info 0
		.amdhsa_system_vgpr_workitem_id 0
		.amdhsa_next_free_vgpr 3
		.amdhsa_next_free_sgpr 16
		.amdhsa_reserve_vcc 1
		.amdhsa_float_round_mode_32 0
		.amdhsa_float_round_mode_16_64 0
		.amdhsa_float_denorm_mode_32 3
		.amdhsa_float_denorm_mode_16_64 3
		.amdhsa_dx10_clamp 1
		.amdhsa_ieee_mode 1
		.amdhsa_fp16_overflow 0
		.amdhsa_workgroup_processor_mode 1
		.amdhsa_memory_ordered 1
		.amdhsa_forward_progress 0
		.amdhsa_shared_vgpr_count 0
		.amdhsa_exception_fp_ieee_invalid_op 0
		.amdhsa_exception_fp_denorm_src 0
		.amdhsa_exception_fp_ieee_div_zero 0
		.amdhsa_exception_fp_ieee_overflow 0
		.amdhsa_exception_fp_ieee_underflow 0
		.amdhsa_exception_fp_ieee_inexact 0
		.amdhsa_exception_int_div_zero 0
	.end_amdhsa_kernel
	.section	.text._ZN9rocsparseL19check_row_ptr_arrayILj256EiiEEvT1_PKT0_P22rocsparse_data_status_,"axG",@progbits,_ZN9rocsparseL19check_row_ptr_arrayILj256EiiEEvT1_PKT0_P22rocsparse_data_status_,comdat
.Lfunc_end0:
	.size	_ZN9rocsparseL19check_row_ptr_arrayILj256EiiEEvT1_PKT0_P22rocsparse_data_status_, .Lfunc_end0-_ZN9rocsparseL19check_row_ptr_arrayILj256EiiEEvT1_PKT0_P22rocsparse_data_status_
                                        ; -- End function
	.section	.AMDGPU.csdata,"",@progbits
; Kernel info:
; codeLenInByte = 176
; NumSgprs: 18
; NumVgprs: 3
; ScratchSize: 0
; MemoryBound: 0
; FloatMode: 240
; IeeeMode: 1
; LDSByteSize: 0 bytes/workgroup (compile time only)
; SGPRBlocks: 2
; VGPRBlocks: 0
; NumSGPRsForWavesPerEU: 18
; NumVGPRsForWavesPerEU: 3
; Occupancy: 16
; WaveLimiterHint : 0
; COMPUTE_PGM_RSRC2:SCRATCH_EN: 0
; COMPUTE_PGM_RSRC2:USER_SGPR: 15
; COMPUTE_PGM_RSRC2:TRAP_HANDLER: 0
; COMPUTE_PGM_RSRC2:TGID_X_EN: 1
; COMPUTE_PGM_RSRC2:TGID_Y_EN: 0
; COMPUTE_PGM_RSRC2:TGID_Z_EN: 0
; COMPUTE_PGM_RSRC2:TIDIG_COMP_CNT: 0
	.section	.text._ZN9rocsparseL20shift_offsets_kernelILj512EiiEEvT1_PKT0_PS2_,"axG",@progbits,_ZN9rocsparseL20shift_offsets_kernelILj512EiiEEvT1_PKT0_PS2_,comdat
	.globl	_ZN9rocsparseL20shift_offsets_kernelILj512EiiEEvT1_PKT0_PS2_ ; -- Begin function _ZN9rocsparseL20shift_offsets_kernelILj512EiiEEvT1_PKT0_PS2_
	.p2align	8
	.type	_ZN9rocsparseL20shift_offsets_kernelILj512EiiEEvT1_PKT0_PS2_,@function
_ZN9rocsparseL20shift_offsets_kernelILj512EiiEEvT1_PKT0_PS2_: ; @_ZN9rocsparseL20shift_offsets_kernelILj512EiiEEvT1_PKT0_PS2_
; %bb.0:
	s_load_b32 s2, s[0:1], 0x0
	v_lshl_or_b32 v0, s15, 9, v0
	s_waitcnt lgkmcnt(0)
	s_delay_alu instid0(VALU_DEP_1)
	v_cmp_gt_i32_e32 vcc_lo, s2, v0
	s_and_saveexec_b32 s2, vcc_lo
	s_cbranch_execz .LBB1_2
; %bb.1:
	s_load_b128 s[0:3], s[0:1], 0x8
	v_ashrrev_i32_e32 v1, 31, v0
	s_delay_alu instid0(VALU_DEP_1) | instskip(SKIP_1) | instid1(VALU_DEP_1)
	v_lshlrev_b64 v[0:1], 2, v[0:1]
	s_waitcnt lgkmcnt(0)
	v_add_co_u32 v2, vcc_lo, s0, v0
	s_delay_alu instid0(VALU_DEP_2)
	v_add_co_ci_u32_e32 v3, vcc_lo, s1, v1, vcc_lo
	v_add_co_u32 v0, vcc_lo, s2, v0
	v_add_co_ci_u32_e32 v1, vcc_lo, s3, v1, vcc_lo
	global_load_b32 v2, v[2:3], off
	s_load_b32 s0, s[0:1], 0x0
	s_waitcnt vmcnt(0) lgkmcnt(0)
	v_subrev_nc_u32_e32 v2, s0, v2
	global_store_b32 v[0:1], v2, off
.LBB1_2:
	s_nop 0
	s_sendmsg sendmsg(MSG_DEALLOC_VGPRS)
	s_endpgm
	.section	.rodata,"a",@progbits
	.p2align	6, 0x0
	.amdhsa_kernel _ZN9rocsparseL20shift_offsets_kernelILj512EiiEEvT1_PKT0_PS2_
		.amdhsa_group_segment_fixed_size 0
		.amdhsa_private_segment_fixed_size 0
		.amdhsa_kernarg_size 24
		.amdhsa_user_sgpr_count 15
		.amdhsa_user_sgpr_dispatch_ptr 0
		.amdhsa_user_sgpr_queue_ptr 0
		.amdhsa_user_sgpr_kernarg_segment_ptr 1
		.amdhsa_user_sgpr_dispatch_id 0
		.amdhsa_user_sgpr_private_segment_size 0
		.amdhsa_wavefront_size32 1
		.amdhsa_uses_dynamic_stack 0
		.amdhsa_enable_private_segment 0
		.amdhsa_system_sgpr_workgroup_id_x 1
		.amdhsa_system_sgpr_workgroup_id_y 0
		.amdhsa_system_sgpr_workgroup_id_z 0
		.amdhsa_system_sgpr_workgroup_info 0
		.amdhsa_system_vgpr_workitem_id 0
		.amdhsa_next_free_vgpr 4
		.amdhsa_next_free_sgpr 16
		.amdhsa_reserve_vcc 1
		.amdhsa_float_round_mode_32 0
		.amdhsa_float_round_mode_16_64 0
		.amdhsa_float_denorm_mode_32 3
		.amdhsa_float_denorm_mode_16_64 3
		.amdhsa_dx10_clamp 1
		.amdhsa_ieee_mode 1
		.amdhsa_fp16_overflow 0
		.amdhsa_workgroup_processor_mode 1
		.amdhsa_memory_ordered 1
		.amdhsa_forward_progress 0
		.amdhsa_shared_vgpr_count 0
		.amdhsa_exception_fp_ieee_invalid_op 0
		.amdhsa_exception_fp_denorm_src 0
		.amdhsa_exception_fp_ieee_div_zero 0
		.amdhsa_exception_fp_ieee_overflow 0
		.amdhsa_exception_fp_ieee_underflow 0
		.amdhsa_exception_fp_ieee_inexact 0
		.amdhsa_exception_int_div_zero 0
	.end_amdhsa_kernel
	.section	.text._ZN9rocsparseL20shift_offsets_kernelILj512EiiEEvT1_PKT0_PS2_,"axG",@progbits,_ZN9rocsparseL20shift_offsets_kernelILj512EiiEEvT1_PKT0_PS2_,comdat
.Lfunc_end1:
	.size	_ZN9rocsparseL20shift_offsets_kernelILj512EiiEEvT1_PKT0_PS2_, .Lfunc_end1-_ZN9rocsparseL20shift_offsets_kernelILj512EiiEEvT1_PKT0_PS2_
                                        ; -- End function
	.section	.AMDGPU.csdata,"",@progbits
; Kernel info:
; codeLenInByte = 136
; NumSgprs: 18
; NumVgprs: 4
; ScratchSize: 0
; MemoryBound: 0
; FloatMode: 240
; IeeeMode: 1
; LDSByteSize: 0 bytes/workgroup (compile time only)
; SGPRBlocks: 2
; VGPRBlocks: 0
; NumSGPRsForWavesPerEU: 18
; NumVGPRsForWavesPerEU: 4
; Occupancy: 16
; WaveLimiterHint : 0
; COMPUTE_PGM_RSRC2:SCRATCH_EN: 0
; COMPUTE_PGM_RSRC2:USER_SGPR: 15
; COMPUTE_PGM_RSRC2:TRAP_HANDLER: 0
; COMPUTE_PGM_RSRC2:TGID_X_EN: 1
; COMPUTE_PGM_RSRC2:TGID_Y_EN: 0
; COMPUTE_PGM_RSRC2:TGID_Z_EN: 0
; COMPUTE_PGM_RSRC2:TIDIG_COMP_CNT: 0
	.section	.text._ZN9rocsparseL25check_matrix_gebsr_deviceILj256EfiiEEv20rocsparse_direction_T2_S2_T1_S2_S2_PKT0_PKS3_PKS2_SA_21rocsparse_index_base_22rocsparse_matrix_type_20rocsparse_fill_mode_23rocsparse_storage_mode_P22rocsparse_data_status_,"axG",@progbits,_ZN9rocsparseL25check_matrix_gebsr_deviceILj256EfiiEEv20rocsparse_direction_T2_S2_T1_S2_S2_PKT0_PKS3_PKS2_SA_21rocsparse_index_base_22rocsparse_matrix_type_20rocsparse_fill_mode_23rocsparse_storage_mode_P22rocsparse_data_status_,comdat
	.globl	_ZN9rocsparseL25check_matrix_gebsr_deviceILj256EfiiEEv20rocsparse_direction_T2_S2_T1_S2_S2_PKT0_PKS3_PKS2_SA_21rocsparse_index_base_22rocsparse_matrix_type_20rocsparse_fill_mode_23rocsparse_storage_mode_P22rocsparse_data_status_ ; -- Begin function _ZN9rocsparseL25check_matrix_gebsr_deviceILj256EfiiEEv20rocsparse_direction_T2_S2_T1_S2_S2_PKT0_PKS3_PKS2_SA_21rocsparse_index_base_22rocsparse_matrix_type_20rocsparse_fill_mode_23rocsparse_storage_mode_P22rocsparse_data_status_
	.p2align	8
	.type	_ZN9rocsparseL25check_matrix_gebsr_deviceILj256EfiiEEv20rocsparse_direction_T2_S2_T1_S2_S2_PKT0_PKS3_PKS2_SA_21rocsparse_index_base_22rocsparse_matrix_type_20rocsparse_fill_mode_23rocsparse_storage_mode_P22rocsparse_data_status_,@function
_ZN9rocsparseL25check_matrix_gebsr_deviceILj256EfiiEEv20rocsparse_direction_T2_S2_T1_S2_S2_PKT0_PKS3_PKS2_SA_21rocsparse_index_base_22rocsparse_matrix_type_20rocsparse_fill_mode_23rocsparse_storage_mode_P22rocsparse_data_status_: ; @_ZN9rocsparseL25check_matrix_gebsr_deviceILj256EfiiEEv20rocsparse_direction_T2_S2_T1_S2_S2_PKT0_PKS3_PKS2_SA_21rocsparse_index_base_22rocsparse_matrix_type_20rocsparse_fill_mode_23rocsparse_storage_mode_P22rocsparse_data_status_
; %bb.0:
	s_load_b128 s[16:19], s[0:1], 0x0
	v_lshl_or_b32 v0, s15, 8, v0
	s_mov_b32 s2, exec_lo
	s_waitcnt lgkmcnt(0)
	s_delay_alu instid0(VALU_DEP_1)
	v_cmpx_gt_i32_e64 s17, v0
	s_cbranch_execz .LBB2_63
; %bb.1:
	s_load_b64 s[2:3], s[0:1], 0x20
	v_ashrrev_i32_e32 v1, 31, v0
	v_mov_b32_e32 v13, 3
	s_mov_b32 s4, -1
	s_delay_alu instid0(VALU_DEP_2) | instskip(SKIP_1) | instid1(VALU_DEP_1)
	v_lshlrev_b64 v[1:2], 2, v[0:1]
	s_waitcnt lgkmcnt(0)
	v_add_co_u32 v1, vcc_lo, s2, v1
	s_delay_alu instid0(VALU_DEP_2)
	v_add_co_ci_u32_e32 v2, vcc_lo, s3, v2, vcc_lo
	s_load_b32 s2, s[2:3], 0x0
	global_load_b64 v[1:2], v[1:2], off
	s_waitcnt vmcnt(0) lgkmcnt(0)
	v_subrev_nc_u32_e32 v7, s2, v2
	v_subrev_nc_u32_e32 v8, s2, v1
	v_cmp_lt_i32_e64 s2, v2, v1
	s_delay_alu instid0(VALU_DEP_3) | instskip(NEXT) | instid1(VALU_DEP_3)
	v_cmp_gt_i32_e32 vcc_lo, 0, v7
	v_cmp_lt_i32_e64 s3, -1, v8
	s_delay_alu instid0(VALU_DEP_3) | instskip(NEXT) | instid1(SALU_CYCLE_1)
	s_or_b32 s2, vcc_lo, s2
	s_xor_b32 s5, s2, -1
	s_mov_b32 s2, 0
	s_delay_alu instid0(VALU_DEP_1) | instskip(NEXT) | instid1(SALU_CYCLE_1)
	s_and_b32 s3, s3, s5
	s_and_saveexec_b32 s19, s3
	s_cbranch_execz .LBB2_61
; %bb.2:
	v_mov_b32_e32 v13, 3
	s_mov_b32 s20, exec_lo
	v_cmpx_lt_i32_e64 v1, v2
	s_cbranch_execz .LBB2_60
; %bb.3:
	s_clause 0x1
	s_load_b128 s[12:15], s[0:1], 0x10
	s_load_b256 s[4:11], s[0:1], 0x28
	s_cmp_lg_u32 s16, 0
	s_mov_b32 s17, 0
	s_cselect_b32 s21, -1, 0
                                        ; implicit-def: $sgpr25
                                        ; implicit-def: $sgpr26
                                        ; implicit-def: $sgpr27
	s_waitcnt lgkmcnt(0)
	s_mul_i32 s2, s13, s12
	s_mul_hi_i32 s3, s13, s12
	v_mad_u64_u32 v[3:4], null, s2, v8, 0
	s_cmp_gt_i32 s13, 0
	s_cselect_b32 s22, -1, 0
	s_cmp_gt_i32 s12, 0
	s_cselect_b32 s23, -1, 0
	s_delay_alu instid0(VALU_DEP_1) | instskip(SKIP_3) | instid1(VALU_DEP_1)
	v_mov_b32_e32 v1, v4
	s_cmp_lg_u32 s9, 0
	s_cselect_b32 s9, -1, 0
	s_cmp_lg_u32 s10, 0
	v_mad_u64_u32 v[4:5], null, s3, v8, v[1:2]
	v_mov_b32_e32 v2, 0
	s_cselect_b32 s10, -1, 0
	s_cmp_lg_u32 s11, 0
	v_mov_b32_e32 v1, v8
	s_cselect_b32 s11, -1, 0
	s_add_u32 s24, s6, -4
	s_delay_alu instid0(VALU_DEP_3) | instskip(NEXT) | instid1(VALU_DEP_1)
	v_lshlrev_b64 v[3:4], 2, v[3:4]
	v_add_co_u32 v9, vcc_lo, s14, v3
	s_delay_alu instid0(VALU_DEP_2)
	v_add_co_ci_u32_e32 v10, vcc_lo, s15, v4, vcc_lo
	s_addc_u32 s14, s7, -1
	s_lshl_b64 s[6:7], s[2:3], 2
	s_mov_b32 s15, 0
	s_branch .LBB2_9
.LBB2_4:                                ;   in Loop: Header=BB2_9 Depth=1
	s_or_b32 exec_lo, exec_lo, s35
	s_delay_alu instid0(SALU_CYCLE_1)
	s_and_not1_b32 s31, s33, exec_lo
	s_and_b32 s3, s3, exec_lo
	s_or_not1_b32 s2, s2, exec_lo
	s_or_b32 s33, s31, s3
.LBB2_5:                                ;   in Loop: Header=BB2_9 Depth=1
	s_or_b32 exec_lo, exec_lo, s34
	s_delay_alu instid0(SALU_CYCLE_1) | instskip(SKIP_1) | instid1(SALU_CYCLE_1)
	s_and_not1_b32 s3, s30, exec_lo
	s_and_b32 s30, s33, exec_lo
	s_or_b32 s30, s3, s30
	s_or_not1_b32 s3, s2, exec_lo
.LBB2_6:                                ;   in Loop: Header=BB2_9 Depth=1
	s_or_b32 exec_lo, exec_lo, s16
	s_delay_alu instid0(SALU_CYCLE_1)
	s_or_not1_b32 s16, s30, exec_lo
	s_or_not1_b32 s2, s3, exec_lo
.LBB2_7:                                ;   in Loop: Header=BB2_9 Depth=1
	s_or_b32 exec_lo, exec_lo, s29
	s_delay_alu instid0(SALU_CYCLE_1)
	s_and_not1_b32 s3, s27, exec_lo
	s_and_b32 s16, s16, exec_lo
	s_and_not1_b32 s26, s26, exec_lo
	s_and_b32 s2, s2, exec_lo
	s_or_b32 s27, s3, s16
	s_or_b32 s26, s26, s2
.LBB2_8:                                ;   in Loop: Header=BB2_9 Depth=1
	s_or_b32 exec_lo, exec_lo, s28
	s_delay_alu instid0(SALU_CYCLE_1) | instskip(NEXT) | instid1(SALU_CYCLE_1)
	s_and_b32 s2, exec_lo, s26
	s_or_b32 s15, s2, s15
	s_and_not1_b32 s2, s25, exec_lo
	s_and_b32 s3, s27, exec_lo
	s_delay_alu instid0(SALU_CYCLE_1)
	s_or_b32 s25, s2, s3
	s_and_not1_b32 exec_lo, exec_lo, s15
	s_cbranch_execz .LBB2_59
.LBB2_9:                                ; =>This Loop Header: Depth=1
                                        ;     Child Loop BB2_34 Depth 2
                                        ;       Child Loop BB2_38 Depth 3
                                        ;     Child Loop BB2_17 Depth 2
                                        ;       Child Loop BB2_21 Depth 3
	v_lshlrev_b64 v[5:6], 2, v[1:2]
	v_mov_b32_e32 v13, 4
	s_or_b32 s27, s27, exec_lo
	s_or_b32 s26, s26, exec_lo
	s_delay_alu instid0(VALU_DEP_2) | instskip(NEXT) | instid1(VALU_DEP_3)
	v_add_co_u32 v3, vcc_lo, s4, v5
	v_add_co_ci_u32_e32 v4, vcc_lo, s5, v6, vcc_lo
	global_load_b32 v11, v[3:4], off
	s_waitcnt vmcnt(0)
	v_subrev_nc_u32_e32 v12, s8, v11
	s_delay_alu instid0(VALU_DEP_1) | instskip(SKIP_1) | instid1(VALU_DEP_1)
	v_cmp_lt_i32_e32 vcc_lo, -1, v12
	v_cmp_gt_i32_e64 s2, s18, v12
	s_and_b32 s2, vcc_lo, s2
	s_delay_alu instid0(SALU_CYCLE_1)
	s_and_saveexec_b32 s28, s2
	s_cbranch_execz .LBB2_8
; %bb.10:                               ;   in Loop: Header=BB2_9 Depth=1
	v_cmp_le_i32_e64 s31, v1, v8
	v_mov_b32_e32 v13, 4
	s_mov_b32 s16, exec_lo
	s_delay_alu instid0(VALU_DEP_2)
	s_mov_b32 s3, s31
	v_cmpx_gt_i32_e64 v1, v8
	s_cbranch_execz .LBB2_12
; %bb.11:                               ;   in Loop: Header=BB2_9 Depth=1
	v_add_co_u32 v5, vcc_lo, s24, v5
	v_add_co_ci_u32_e32 v6, vcc_lo, s14, v6, vcc_lo
	global_load_b64 v[5:6], v[5:6], off
	s_waitcnt vmcnt(0)
	v_subrev_nc_u32_e32 v13, s8, v5
	v_cmp_ne_u32_e64 s3, v6, v5
	s_delay_alu instid0(VALU_DEP_2) | instskip(SKIP_2) | instid1(VALU_DEP_2)
	v_cmp_lt_i32_e32 vcc_lo, -1, v13
	v_cmp_gt_i32_e64 s2, s18, v13
	v_mov_b32_e32 v13, 5
	s_and_b32 s2, vcc_lo, s2
	s_delay_alu instid0(SALU_CYCLE_1) | instskip(NEXT) | instid1(SALU_CYCLE_1)
	s_xor_b32 s2, s2, -1
	s_or_b32 s2, s3, s2
	s_and_not1_b32 s3, s31, exec_lo
	s_and_b32 s2, s2, exec_lo
	s_delay_alu instid0(SALU_CYCLE_1)
	s_or_b32 s3, s3, s2
.LBB2_12:                               ;   in Loop: Header=BB2_9 Depth=1
	s_or_b32 exec_lo, exec_lo, s16
	s_mov_b32 s2, -1
	s_mov_b32 s16, -1
	s_and_saveexec_b32 s29, s3
	s_cbranch_execz .LBB2_7
; %bb.13:                               ;   in Loop: Header=BB2_9 Depth=1
	s_and_b32 vcc_lo, exec_lo, s21
	s_cbranch_vccz .LBB2_29
; %bb.14:                               ;   in Loop: Header=BB2_9 Depth=1
	s_and_b32 vcc_lo, exec_lo, s22
	s_cbranch_vccz .LBB2_30
; %bb.15:                               ;   in Loop: Header=BB2_9 Depth=1
	s_mov_b32 s3, 0
	s_mov_b32 s33, 0
	;; [unrolled: 1-line block ×3, first 2 shown]
                                        ; implicit-def: $sgpr2
                                        ; implicit-def: $sgpr30
                                        ; implicit-def: $sgpr34
	s_branch .LBB2_17
.LBB2_16:                               ;   in Loop: Header=BB2_17 Depth=2
	s_or_b32 exec_lo, exec_lo, s38
	s_xor_b32 s36, s36, -1
	s_and_b32 s35, exec_lo, s35
	s_delay_alu instid0(SALU_CYCLE_1)
	s_or_b32 s3, s35, s3
	s_and_not1_b32 s30, s30, exec_lo
	s_and_b32 s35, s34, exec_lo
	s_and_not1_b32 s2, s2, exec_lo
	s_and_b32 s36, s36, exec_lo
	s_or_b32 s30, s30, s35
	s_or_b32 s2, s2, s36
	s_and_not1_b32 exec_lo, exec_lo, s3
	s_cbranch_execz .LBB2_28
.LBB2_17:                               ;   Parent Loop BB2_9 Depth=1
                                        ; =>  This Loop Header: Depth=2
                                        ;       Child Loop BB2_21 Depth 3
	s_and_not1_b32 vcc_lo, exec_lo, s23
	s_mov_b32 s35, -1
	s_cbranch_vccnz .LBB2_25
; %bb.18:                               ;   in Loop: Header=BB2_17 Depth=2
	s_lshl_b64 s[36:37], s[16:17], 2
	s_mov_b32 s38, 0
	v_add_co_u32 v5, vcc_lo, v9, s36
	v_add_co_ci_u32_e32 v6, vcc_lo, s37, v10, vcc_lo
	s_mov_b32 s39, s12
                                        ; implicit-def: $sgpr37
                                        ; implicit-def: $sgpr36
                                        ; implicit-def: $sgpr40
                                        ; implicit-def: $sgpr41
	s_set_inst_prefetch_distance 0x1
	s_branch .LBB2_21
	.p2align	6
.LBB2_19:                               ;   in Loop: Header=BB2_21 Depth=3
	s_or_b32 exec_lo, exec_lo, s45
	v_mov_b32_e32 v13, 2
	s_and_not1_b32 s41, s41, exec_lo
	s_and_b32 s45, s46, exec_lo
	s_and_not1_b32 s40, s40, exec_lo
	s_and_b32 s44, s44, exec_lo
	s_or_b32 s41, s41, s45
	s_or_b32 s40, s40, s44
.LBB2_20:                               ;   in Loop: Header=BB2_21 Depth=3
	s_or_b32 exec_lo, exec_lo, s43
	s_xor_b32 s43, s41, -1
	s_and_b32 s44, exec_lo, s40
	s_delay_alu instid0(SALU_CYCLE_1)
	s_or_b32 s38, s44, s38
	s_and_not1_b32 s36, s36, exec_lo
	s_and_b32 s42, s42, exec_lo
	s_and_not1_b32 s37, s37, exec_lo
	s_and_b32 s43, s43, exec_lo
	s_or_b32 s36, s36, s42
	s_or_b32 s37, s37, s43
	s_and_not1_b32 exec_lo, exec_lo, s38
	s_cbranch_execz .LBB2_24
.LBB2_21:                               ;   Parent Loop BB2_9 Depth=1
                                        ;     Parent Loop BB2_17 Depth=2
                                        ; =>    This Inner Loop Header: Depth=3
	global_load_b32 v14, v[5:6], off
	v_mov_b32_e32 v13, 1
	s_mov_b32 s42, -1
	s_or_b32 s41, s41, exec_lo
	s_or_b32 s40, s40, exec_lo
	s_mov_b32 s43, exec_lo
	s_waitcnt vmcnt(0)
	v_cmpx_neq_f32_e32 0x7f800000, v14
	s_xor_b32 s43, exec_lo, s43
	s_cbranch_execz .LBB2_20
; %bb.22:                               ;   in Loop: Header=BB2_21 Depth=3
	s_mov_b32 s44, -1
	s_mov_b32 s46, -1
	s_mov_b32 s45, exec_lo
	v_cmpx_o_f32_e32 v14, v14
	s_cbranch_execz .LBB2_19
; %bb.23:                               ;   in Loop: Header=BB2_21 Depth=3
	s_add_i32 s39, s39, -1
	v_add_co_u32 v5, vcc_lo, v5, 4
	s_cmp_eq_u32 s39, 0
	v_add_co_ci_u32_e32 v6, vcc_lo, 0, v6, vcc_lo
	s_cselect_b32 s44, -1, 0
	s_xor_b32 s46, exec_lo, -1
	s_or_not1_b32 s44, s44, exec_lo
	s_branch .LBB2_19
.LBB2_24:                               ;   in Loop: Header=BB2_17 Depth=2
	s_set_inst_prefetch_distance 0x2
	s_or_b32 exec_lo, exec_lo, s38
	s_branch .LBB2_26
.LBB2_25:                               ;   in Loop: Header=BB2_17 Depth=2
	s_mov_b32 s37, -1
                                        ; implicit-def: $sgpr36
                                        ; implicit-def: $vgpr13
.LBB2_26:                               ;   in Loop: Header=BB2_17 Depth=2
	s_and_not1_b32 s34, s34, exec_lo
	s_and_b32 s38, s36, exec_lo
	s_delay_alu instid0(SALU_CYCLE_1)
	s_or_b32 s34, s34, s38
	s_and_saveexec_b32 s38, s37
	s_cbranch_execz .LBB2_16
; %bb.27:                               ;   in Loop: Header=BB2_17 Depth=2
	s_add_i32 s33, s33, 1
	s_add_i32 s16, s16, s12
	s_cmp_eq_u32 s33, s13
                                        ; implicit-def: $vgpr13
	s_cselect_b32 s35, -1, 0
	s_and_not1_b32 s36, s36, exec_lo
	s_and_not1_b32 s34, s34, exec_lo
	s_or_not1_b32 s35, s35, exec_lo
	s_branch .LBB2_16
.LBB2_28:                               ;   in Loop: Header=BB2_9 Depth=1
	s_or_b32 exec_lo, exec_lo, s3
	s_branch .LBB2_46
.LBB2_29:                               ;   in Loop: Header=BB2_9 Depth=1
	s_mov_b32 s2, 0
	s_mov_b32 s30, -1
	s_cbranch_execnz .LBB2_31
	s_branch .LBB2_46
.LBB2_30:                               ;   in Loop: Header=BB2_9 Depth=1
	s_mov_b32 s30, -1
	s_branch .LBB2_46
.LBB2_31:                               ;   in Loop: Header=BB2_9 Depth=1
	s_and_b32 vcc_lo, exec_lo, s23
	s_cbranch_vccz .LBB2_50
; %bb.32:                               ;   in Loop: Header=BB2_9 Depth=1
	s_mov_b32 s3, 0
	s_mov_b32 s33, 0
	;; [unrolled: 1-line block ×3, first 2 shown]
                                        ; implicit-def: $sgpr2
                                        ; implicit-def: $sgpr30
                                        ; implicit-def: $sgpr34
	s_branch .LBB2_34
.LBB2_33:                               ;   in Loop: Header=BB2_34 Depth=2
	s_or_b32 exec_lo, exec_lo, s38
	s_xor_b32 s36, s36, -1
	s_and_b32 s35, exec_lo, s35
	s_delay_alu instid0(SALU_CYCLE_1)
	s_or_b32 s3, s35, s3
	s_and_not1_b32 s30, s30, exec_lo
	s_and_b32 s35, s34, exec_lo
	s_and_not1_b32 s2, s2, exec_lo
	s_and_b32 s36, s36, exec_lo
	s_or_b32 s30, s30, s35
	s_or_b32 s2, s2, s36
	s_and_not1_b32 exec_lo, exec_lo, s3
	s_cbranch_execz .LBB2_45
.LBB2_34:                               ;   Parent Loop BB2_9 Depth=1
                                        ; =>  This Loop Header: Depth=2
                                        ;       Child Loop BB2_38 Depth 3
	s_and_not1_b32 vcc_lo, exec_lo, s22
	s_mov_b32 s35, -1
	s_cbranch_vccnz .LBB2_42
; %bb.35:                               ;   in Loop: Header=BB2_34 Depth=2
	s_lshl_b64 s[36:37], s[16:17], 2
	s_mov_b32 s38, 0
	v_add_co_u32 v5, vcc_lo, v9, s36
	v_add_co_ci_u32_e32 v6, vcc_lo, s37, v10, vcc_lo
	s_mov_b32 s39, s13
                                        ; implicit-def: $sgpr37
                                        ; implicit-def: $sgpr36
                                        ; implicit-def: $sgpr40
                                        ; implicit-def: $sgpr41
	s_set_inst_prefetch_distance 0x1
	s_branch .LBB2_38
	.p2align	6
.LBB2_36:                               ;   in Loop: Header=BB2_38 Depth=3
	s_or_b32 exec_lo, exec_lo, s45
	v_mov_b32_e32 v13, 2
	s_and_not1_b32 s41, s41, exec_lo
	s_and_b32 s45, s46, exec_lo
	s_and_not1_b32 s40, s40, exec_lo
	s_and_b32 s44, s44, exec_lo
	s_or_b32 s41, s41, s45
	s_or_b32 s40, s40, s44
.LBB2_37:                               ;   in Loop: Header=BB2_38 Depth=3
	s_or_b32 exec_lo, exec_lo, s43
	s_xor_b32 s43, s41, -1
	s_and_b32 s44, exec_lo, s40
	s_delay_alu instid0(SALU_CYCLE_1)
	s_or_b32 s38, s44, s38
	s_and_not1_b32 s36, s36, exec_lo
	s_and_b32 s42, s42, exec_lo
	s_and_not1_b32 s37, s37, exec_lo
	s_and_b32 s43, s43, exec_lo
	s_or_b32 s36, s36, s42
	s_or_b32 s37, s37, s43
	s_and_not1_b32 exec_lo, exec_lo, s38
	s_cbranch_execz .LBB2_41
.LBB2_38:                               ;   Parent Loop BB2_9 Depth=1
                                        ;     Parent Loop BB2_34 Depth=2
                                        ; =>    This Inner Loop Header: Depth=3
	global_load_b32 v14, v[5:6], off
	v_mov_b32_e32 v13, 1
	s_mov_b32 s42, -1
	s_or_b32 s41, s41, exec_lo
	s_or_b32 s40, s40, exec_lo
	s_mov_b32 s43, exec_lo
	s_waitcnt vmcnt(0)
	v_cmpx_neq_f32_e32 0x7f800000, v14
	s_xor_b32 s43, exec_lo, s43
	s_cbranch_execz .LBB2_37
; %bb.39:                               ;   in Loop: Header=BB2_38 Depth=3
	s_mov_b32 s44, -1
	s_mov_b32 s46, -1
	s_mov_b32 s45, exec_lo
	v_cmpx_o_f32_e32 v14, v14
	s_cbranch_execz .LBB2_36
; %bb.40:                               ;   in Loop: Header=BB2_38 Depth=3
	s_add_i32 s39, s39, -1
	v_add_co_u32 v5, vcc_lo, v5, 4
	s_cmp_eq_u32 s39, 0
	v_add_co_ci_u32_e32 v6, vcc_lo, 0, v6, vcc_lo
	s_cselect_b32 s44, -1, 0
	s_xor_b32 s46, exec_lo, -1
	s_or_not1_b32 s44, s44, exec_lo
	s_branch .LBB2_36
.LBB2_41:                               ;   in Loop: Header=BB2_34 Depth=2
	s_set_inst_prefetch_distance 0x2
	s_or_b32 exec_lo, exec_lo, s38
	s_branch .LBB2_43
.LBB2_42:                               ;   in Loop: Header=BB2_34 Depth=2
	s_mov_b32 s37, -1
                                        ; implicit-def: $sgpr36
                                        ; implicit-def: $vgpr13
.LBB2_43:                               ;   in Loop: Header=BB2_34 Depth=2
	s_and_not1_b32 s34, s34, exec_lo
	s_and_b32 s38, s36, exec_lo
	s_delay_alu instid0(SALU_CYCLE_1)
	s_or_b32 s34, s34, s38
	s_and_saveexec_b32 s38, s37
	s_cbranch_execz .LBB2_33
; %bb.44:                               ;   in Loop: Header=BB2_34 Depth=2
	s_add_i32 s33, s33, 1
	s_add_i32 s16, s16, s13
	s_cmp_eq_u32 s33, s12
                                        ; implicit-def: $vgpr13
	s_cselect_b32 s35, -1, 0
	s_and_not1_b32 s36, s36, exec_lo
	s_and_not1_b32 s34, s34, exec_lo
	s_or_not1_b32 s35, s35, exec_lo
	s_branch .LBB2_33
.LBB2_45:                               ;   in Loop: Header=BB2_9 Depth=1
	s_or_b32 exec_lo, exec_lo, s3
.LBB2_46:                               ;   in Loop: Header=BB2_9 Depth=1
	s_mov_b32 s3, -1
	s_and_saveexec_b32 s16, s2
	s_cbranch_execz .LBB2_6
.LBB2_47:                               ;   in Loop: Header=BB2_9 Depth=1
	s_and_b32 vcc_lo, exec_lo, s9
	s_mov_b32 s2, -1
	s_cbranch_vccz .LBB2_51
; %bb.48:                               ;   in Loop: Header=BB2_9 Depth=1
	s_and_b32 vcc_lo, exec_lo, s10
	s_cbranch_vccz .LBB2_52
; %bb.49:                               ;   in Loop: Header=BB2_9 Depth=1
	v_cmp_le_i32_e32 vcc_lo, v0, v12
	v_mov_b32_e32 v13, 7
	s_or_b32 s33, s30, exec_lo
	s_and_b32 s3, vcc_lo, exec_lo
	s_cbranch_execz .LBB2_53
	s_branch .LBB2_54
.LBB2_50:                               ;   in Loop: Header=BB2_9 Depth=1
	s_mov_b32 s2, -1
	s_mov_b32 s3, -1
	s_and_saveexec_b32 s16, s2
	s_cbranch_execz .LBB2_6
	s_branch .LBB2_47
.LBB2_51:                               ;   in Loop: Header=BB2_9 Depth=1
	s_mov_b32 s33, s30
	s_branch .LBB2_54
.LBB2_52:                               ;   in Loop: Header=BB2_9 Depth=1
	s_mov_b32 s3, 0
	s_mov_b32 s33, s30
.LBB2_53:                               ;   in Loop: Header=BB2_9 Depth=1
	v_cmp_ge_i32_e32 vcc_lo, v0, v12
	v_mov_b32_e32 v13, 7
	s_and_not1_b32 s3, s3, exec_lo
	s_or_b32 s33, s33, exec_lo
	s_and_b32 s34, vcc_lo, exec_lo
	s_delay_alu instid0(SALU_CYCLE_1)
	s_or_b32 s3, s3, s34
.LBB2_54:                               ;   in Loop: Header=BB2_9 Depth=1
	s_delay_alu instid0(SALU_CYCLE_1)
	s_and_saveexec_b32 s34, s3
	s_cbranch_execz .LBB2_5
; %bb.55:                               ;   in Loop: Header=BB2_9 Depth=1
	s_or_b32 s31, s11, s31
	s_mov_b32 s3, s33
	s_xor_b32 s2, s31, -1
	s_delay_alu instid0(SALU_CYCLE_1)
	s_and_saveexec_b32 s35, s2
	s_cbranch_execz .LBB2_57
; %bb.56:                               ;   in Loop: Header=BB2_9 Depth=1
	global_load_b32 v3, v[3:4], off offset:-4
	v_mov_b32_e32 v13, 6
	s_and_not1_b32 s31, s31, exec_lo
	s_waitcnt vmcnt(0)
	v_subrev_nc_u32_e32 v4, s8, v3
	v_cmp_gt_i32_e64 s3, v11, v3
	s_delay_alu instid0(VALU_DEP_2) | instskip(SKIP_1) | instid1(VALU_DEP_1)
	v_cmp_lt_i32_e32 vcc_lo, -1, v4
	v_cmp_gt_i32_e64 s2, s18, v4
	s_and_b32 s2, vcc_lo, s2
	s_delay_alu instid0(SALU_CYCLE_1) | instskip(NEXT) | instid1(SALU_CYCLE_1)
	s_xor_b32 s2, s2, -1
	s_or_b32 s2, s3, s2
	s_or_b32 s3, s33, exec_lo
	s_and_b32 s2, s2, exec_lo
	s_delay_alu instid0(SALU_CYCLE_1)
	s_or_b32 s31, s31, s2
.LBB2_57:                               ;   in Loop: Header=BB2_9 Depth=1
	s_or_b32 exec_lo, exec_lo, s35
	s_mov_b32 s2, -1
	s_and_saveexec_b32 s35, s31
	s_cbranch_execz .LBB2_4
; %bb.58:                               ;   in Loop: Header=BB2_9 Depth=1
	v_add_nc_u32_e32 v1, 1, v1
	v_add_co_u32 v9, s2, v9, s6
	s_delay_alu instid0(VALU_DEP_1) | instskip(NEXT) | instid1(VALU_DEP_3)
	v_add_co_ci_u32_e64 v10, s2, s7, v10, s2
	v_cmp_ge_i32_e32 vcc_lo, v1, v7
	s_and_not1_b32 s3, s3, exec_lo
                                        ; implicit-def: $vgpr13
	s_or_not1_b32 s2, vcc_lo, exec_lo
	s_branch .LBB2_4
.LBB2_59:
	s_or_b32 exec_lo, exec_lo, s15
	s_delay_alu instid0(SALU_CYCLE_1)
	s_and_b32 s2, s25, exec_lo
.LBB2_60:
	s_or_b32 exec_lo, exec_lo, s20
	s_delay_alu instid0(SALU_CYCLE_1)
	s_or_not1_b32 s4, s2, exec_lo
.LBB2_61:
	s_or_b32 exec_lo, exec_lo, s19
	s_delay_alu instid0(SALU_CYCLE_1)
	s_and_b32 exec_lo, exec_lo, s4
	s_cbranch_execz .LBB2_63
; %bb.62:
	s_load_b64 s[0:1], s[0:1], 0x48
	v_mov_b32_e32 v0, 0
	s_waitcnt lgkmcnt(0)
	global_store_b32 v0, v13, s[0:1]
.LBB2_63:
	s_nop 0
	s_sendmsg sendmsg(MSG_DEALLOC_VGPRS)
	s_endpgm
	.section	.rodata,"a",@progbits
	.p2align	6, 0x0
	.amdhsa_kernel _ZN9rocsparseL25check_matrix_gebsr_deviceILj256EfiiEEv20rocsparse_direction_T2_S2_T1_S2_S2_PKT0_PKS3_PKS2_SA_21rocsparse_index_base_22rocsparse_matrix_type_20rocsparse_fill_mode_23rocsparse_storage_mode_P22rocsparse_data_status_
		.amdhsa_group_segment_fixed_size 0
		.amdhsa_private_segment_fixed_size 0
		.amdhsa_kernarg_size 80
		.amdhsa_user_sgpr_count 15
		.amdhsa_user_sgpr_dispatch_ptr 0
		.amdhsa_user_sgpr_queue_ptr 0
		.amdhsa_user_sgpr_kernarg_segment_ptr 1
		.amdhsa_user_sgpr_dispatch_id 0
		.amdhsa_user_sgpr_private_segment_size 0
		.amdhsa_wavefront_size32 1
		.amdhsa_uses_dynamic_stack 0
		.amdhsa_enable_private_segment 0
		.amdhsa_system_sgpr_workgroup_id_x 1
		.amdhsa_system_sgpr_workgroup_id_y 0
		.amdhsa_system_sgpr_workgroup_id_z 0
		.amdhsa_system_sgpr_workgroup_info 0
		.amdhsa_system_vgpr_workitem_id 0
		.amdhsa_next_free_vgpr 15
		.amdhsa_next_free_sgpr 47
		.amdhsa_reserve_vcc 1
		.amdhsa_float_round_mode_32 0
		.amdhsa_float_round_mode_16_64 0
		.amdhsa_float_denorm_mode_32 3
		.amdhsa_float_denorm_mode_16_64 3
		.amdhsa_dx10_clamp 1
		.amdhsa_ieee_mode 1
		.amdhsa_fp16_overflow 0
		.amdhsa_workgroup_processor_mode 1
		.amdhsa_memory_ordered 1
		.amdhsa_forward_progress 0
		.amdhsa_shared_vgpr_count 0
		.amdhsa_exception_fp_ieee_invalid_op 0
		.amdhsa_exception_fp_denorm_src 0
		.amdhsa_exception_fp_ieee_div_zero 0
		.amdhsa_exception_fp_ieee_overflow 0
		.amdhsa_exception_fp_ieee_underflow 0
		.amdhsa_exception_fp_ieee_inexact 0
		.amdhsa_exception_int_div_zero 0
	.end_amdhsa_kernel
	.section	.text._ZN9rocsparseL25check_matrix_gebsr_deviceILj256EfiiEEv20rocsparse_direction_T2_S2_T1_S2_S2_PKT0_PKS3_PKS2_SA_21rocsparse_index_base_22rocsparse_matrix_type_20rocsparse_fill_mode_23rocsparse_storage_mode_P22rocsparse_data_status_,"axG",@progbits,_ZN9rocsparseL25check_matrix_gebsr_deviceILj256EfiiEEv20rocsparse_direction_T2_S2_T1_S2_S2_PKT0_PKS3_PKS2_SA_21rocsparse_index_base_22rocsparse_matrix_type_20rocsparse_fill_mode_23rocsparse_storage_mode_P22rocsparse_data_status_,comdat
.Lfunc_end2:
	.size	_ZN9rocsparseL25check_matrix_gebsr_deviceILj256EfiiEEv20rocsparse_direction_T2_S2_T1_S2_S2_PKT0_PKS3_PKS2_SA_21rocsparse_index_base_22rocsparse_matrix_type_20rocsparse_fill_mode_23rocsparse_storage_mode_P22rocsparse_data_status_, .Lfunc_end2-_ZN9rocsparseL25check_matrix_gebsr_deviceILj256EfiiEEv20rocsparse_direction_T2_S2_T1_S2_S2_PKT0_PKS3_PKS2_SA_21rocsparse_index_base_22rocsparse_matrix_type_20rocsparse_fill_mode_23rocsparse_storage_mode_P22rocsparse_data_status_
                                        ; -- End function
	.section	.AMDGPU.csdata,"",@progbits
; Kernel info:
; codeLenInByte = 1896
; NumSgprs: 49
; NumVgprs: 15
; ScratchSize: 0
; MemoryBound: 0
; FloatMode: 240
; IeeeMode: 1
; LDSByteSize: 0 bytes/workgroup (compile time only)
; SGPRBlocks: 6
; VGPRBlocks: 1
; NumSGPRsForWavesPerEU: 49
; NumVGPRsForWavesPerEU: 15
; Occupancy: 16
; WaveLimiterHint : 0
; COMPUTE_PGM_RSRC2:SCRATCH_EN: 0
; COMPUTE_PGM_RSRC2:USER_SGPR: 15
; COMPUTE_PGM_RSRC2:TRAP_HANDLER: 0
; COMPUTE_PGM_RSRC2:TGID_X_EN: 1
; COMPUTE_PGM_RSRC2:TGID_Y_EN: 0
; COMPUTE_PGM_RSRC2:TGID_Z_EN: 0
; COMPUTE_PGM_RSRC2:TIDIG_COMP_CNT: 0
	.section	.text._ZN9rocsparseL25check_matrix_gebsr_deviceILj256EdiiEEv20rocsparse_direction_T2_S2_T1_S2_S2_PKT0_PKS3_PKS2_SA_21rocsparse_index_base_22rocsparse_matrix_type_20rocsparse_fill_mode_23rocsparse_storage_mode_P22rocsparse_data_status_,"axG",@progbits,_ZN9rocsparseL25check_matrix_gebsr_deviceILj256EdiiEEv20rocsparse_direction_T2_S2_T1_S2_S2_PKT0_PKS3_PKS2_SA_21rocsparse_index_base_22rocsparse_matrix_type_20rocsparse_fill_mode_23rocsparse_storage_mode_P22rocsparse_data_status_,comdat
	.globl	_ZN9rocsparseL25check_matrix_gebsr_deviceILj256EdiiEEv20rocsparse_direction_T2_S2_T1_S2_S2_PKT0_PKS3_PKS2_SA_21rocsparse_index_base_22rocsparse_matrix_type_20rocsparse_fill_mode_23rocsparse_storage_mode_P22rocsparse_data_status_ ; -- Begin function _ZN9rocsparseL25check_matrix_gebsr_deviceILj256EdiiEEv20rocsparse_direction_T2_S2_T1_S2_S2_PKT0_PKS3_PKS2_SA_21rocsparse_index_base_22rocsparse_matrix_type_20rocsparse_fill_mode_23rocsparse_storage_mode_P22rocsparse_data_status_
	.p2align	8
	.type	_ZN9rocsparseL25check_matrix_gebsr_deviceILj256EdiiEEv20rocsparse_direction_T2_S2_T1_S2_S2_PKT0_PKS3_PKS2_SA_21rocsparse_index_base_22rocsparse_matrix_type_20rocsparse_fill_mode_23rocsparse_storage_mode_P22rocsparse_data_status_,@function
_ZN9rocsparseL25check_matrix_gebsr_deviceILj256EdiiEEv20rocsparse_direction_T2_S2_T1_S2_S2_PKT0_PKS3_PKS2_SA_21rocsparse_index_base_22rocsparse_matrix_type_20rocsparse_fill_mode_23rocsparse_storage_mode_P22rocsparse_data_status_: ; @_ZN9rocsparseL25check_matrix_gebsr_deviceILj256EdiiEEv20rocsparse_direction_T2_S2_T1_S2_S2_PKT0_PKS3_PKS2_SA_21rocsparse_index_base_22rocsparse_matrix_type_20rocsparse_fill_mode_23rocsparse_storage_mode_P22rocsparse_data_status_
; %bb.0:
	s_load_b128 s[16:19], s[0:1], 0x0
	v_lshl_or_b32 v0, s15, 8, v0
	s_mov_b32 s2, exec_lo
	s_waitcnt lgkmcnt(0)
	s_delay_alu instid0(VALU_DEP_1)
	v_cmpx_gt_i32_e64 s17, v0
	s_cbranch_execz .LBB3_63
; %bb.1:
	s_load_b64 s[2:3], s[0:1], 0x20
	v_ashrrev_i32_e32 v1, 31, v0
	v_mov_b32_e32 v15, 3
	s_mov_b32 s4, -1
	s_delay_alu instid0(VALU_DEP_2) | instskip(SKIP_1) | instid1(VALU_DEP_1)
	v_lshlrev_b64 v[1:2], 2, v[0:1]
	s_waitcnt lgkmcnt(0)
	v_add_co_u32 v1, vcc_lo, s2, v1
	s_delay_alu instid0(VALU_DEP_2)
	v_add_co_ci_u32_e32 v2, vcc_lo, s3, v2, vcc_lo
	s_load_b32 s2, s[2:3], 0x0
	global_load_b64 v[1:2], v[1:2], off
	s_waitcnt vmcnt(0) lgkmcnt(0)
	v_subrev_nc_u32_e32 v9, s2, v2
	v_subrev_nc_u32_e32 v10, s2, v1
	v_cmp_lt_i32_e64 s2, v2, v1
	s_delay_alu instid0(VALU_DEP_3) | instskip(NEXT) | instid1(VALU_DEP_3)
	v_cmp_gt_i32_e32 vcc_lo, 0, v9
	v_cmp_lt_i32_e64 s3, -1, v10
	s_delay_alu instid0(VALU_DEP_3) | instskip(NEXT) | instid1(SALU_CYCLE_1)
	s_or_b32 s2, vcc_lo, s2
	s_xor_b32 s5, s2, -1
	s_mov_b32 s2, 0
	s_delay_alu instid0(VALU_DEP_1) | instskip(NEXT) | instid1(SALU_CYCLE_1)
	s_and_b32 s3, s3, s5
	s_and_saveexec_b32 s19, s3
	s_cbranch_execz .LBB3_61
; %bb.2:
	v_mov_b32_e32 v15, 3
	s_mov_b32 s20, exec_lo
	v_cmpx_lt_i32_e64 v1, v2
	s_cbranch_execz .LBB3_60
; %bb.3:
	s_clause 0x1
	s_load_b128 s[12:15], s[0:1], 0x10
	s_load_b256 s[4:11], s[0:1], 0x28
	s_cmp_lg_u32 s16, 0
	s_mov_b32 s17, 0
	s_cselect_b32 s21, -1, 0
                                        ; implicit-def: $sgpr25
                                        ; implicit-def: $sgpr26
                                        ; implicit-def: $sgpr27
	s_waitcnt lgkmcnt(0)
	s_mul_i32 s2, s13, s12
	s_mul_hi_i32 s3, s13, s12
	v_mad_u64_u32 v[3:4], null, s2, v10, 0
	s_cmp_gt_i32 s13, 0
	s_cselect_b32 s22, -1, 0
	s_cmp_gt_i32 s12, 0
	s_cselect_b32 s23, -1, 0
	s_delay_alu instid0(VALU_DEP_1) | instskip(SKIP_3) | instid1(VALU_DEP_1)
	v_mov_b32_e32 v1, v4
	s_cmp_lg_u32 s9, 0
	s_cselect_b32 s9, -1, 0
	s_cmp_lg_u32 s10, 0
	v_mad_u64_u32 v[4:5], null, s3, v10, v[1:2]
	v_mov_b32_e32 v2, 0
	s_cselect_b32 s10, -1, 0
	s_cmp_lg_u32 s11, 0
	v_mov_b32_e32 v1, v10
	s_cselect_b32 s11, -1, 0
	s_add_u32 s24, s6, -4
	s_delay_alu instid0(VALU_DEP_3) | instskip(NEXT) | instid1(VALU_DEP_1)
	v_lshlrev_b64 v[3:4], 3, v[3:4]
	v_add_co_u32 v11, vcc_lo, s14, v3
	s_delay_alu instid0(VALU_DEP_2)
	v_add_co_ci_u32_e32 v12, vcc_lo, s15, v4, vcc_lo
	s_addc_u32 s14, s7, -1
	s_lshl_b64 s[6:7], s[2:3], 3
	s_mov_b32 s15, 0
	s_branch .LBB3_9
.LBB3_4:                                ;   in Loop: Header=BB3_9 Depth=1
	s_or_b32 exec_lo, exec_lo, s35
	s_delay_alu instid0(SALU_CYCLE_1)
	s_and_not1_b32 s31, s33, exec_lo
	s_and_b32 s3, s3, exec_lo
	s_or_not1_b32 s2, s2, exec_lo
	s_or_b32 s33, s31, s3
.LBB3_5:                                ;   in Loop: Header=BB3_9 Depth=1
	s_or_b32 exec_lo, exec_lo, s34
	s_delay_alu instid0(SALU_CYCLE_1) | instskip(SKIP_1) | instid1(SALU_CYCLE_1)
	s_and_not1_b32 s3, s30, exec_lo
	s_and_b32 s30, s33, exec_lo
	s_or_b32 s30, s3, s30
	s_or_not1_b32 s3, s2, exec_lo
.LBB3_6:                                ;   in Loop: Header=BB3_9 Depth=1
	s_or_b32 exec_lo, exec_lo, s16
	s_delay_alu instid0(SALU_CYCLE_1)
	s_or_not1_b32 s16, s30, exec_lo
	s_or_not1_b32 s2, s3, exec_lo
.LBB3_7:                                ;   in Loop: Header=BB3_9 Depth=1
	s_or_b32 exec_lo, exec_lo, s29
	s_delay_alu instid0(SALU_CYCLE_1)
	s_and_not1_b32 s3, s27, exec_lo
	s_and_b32 s16, s16, exec_lo
	s_and_not1_b32 s26, s26, exec_lo
	s_and_b32 s2, s2, exec_lo
	s_or_b32 s27, s3, s16
	s_or_b32 s26, s26, s2
.LBB3_8:                                ;   in Loop: Header=BB3_9 Depth=1
	s_or_b32 exec_lo, exec_lo, s28
	s_delay_alu instid0(SALU_CYCLE_1) | instskip(NEXT) | instid1(SALU_CYCLE_1)
	s_and_b32 s2, exec_lo, s26
	s_or_b32 s15, s2, s15
	s_and_not1_b32 s2, s25, exec_lo
	s_and_b32 s3, s27, exec_lo
	s_delay_alu instid0(SALU_CYCLE_1)
	s_or_b32 s25, s2, s3
	s_and_not1_b32 exec_lo, exec_lo, s15
	s_cbranch_execz .LBB3_59
.LBB3_9:                                ; =>This Loop Header: Depth=1
                                        ;     Child Loop BB3_34 Depth 2
                                        ;       Child Loop BB3_38 Depth 3
                                        ;     Child Loop BB3_17 Depth 2
                                        ;       Child Loop BB3_21 Depth 3
	v_lshlrev_b64 v[5:6], 2, v[1:2]
	v_mov_b32_e32 v15, 4
	s_or_b32 s27, s27, exec_lo
	s_or_b32 s26, s26, exec_lo
	s_delay_alu instid0(VALU_DEP_2) | instskip(NEXT) | instid1(VALU_DEP_3)
	v_add_co_u32 v3, vcc_lo, s4, v5
	v_add_co_ci_u32_e32 v4, vcc_lo, s5, v6, vcc_lo
	global_load_b32 v13, v[3:4], off
	s_waitcnt vmcnt(0)
	v_subrev_nc_u32_e32 v14, s8, v13
	s_delay_alu instid0(VALU_DEP_1) | instskip(SKIP_1) | instid1(VALU_DEP_1)
	v_cmp_lt_i32_e32 vcc_lo, -1, v14
	v_cmp_gt_i32_e64 s2, s18, v14
	s_and_b32 s2, vcc_lo, s2
	s_delay_alu instid0(SALU_CYCLE_1)
	s_and_saveexec_b32 s28, s2
	s_cbranch_execz .LBB3_8
; %bb.10:                               ;   in Loop: Header=BB3_9 Depth=1
	v_cmp_le_i32_e64 s31, v1, v10
	v_mov_b32_e32 v15, 4
	s_mov_b32 s16, exec_lo
	s_delay_alu instid0(VALU_DEP_2)
	s_mov_b32 s3, s31
	v_cmpx_gt_i32_e64 v1, v10
	s_cbranch_execz .LBB3_12
; %bb.11:                               ;   in Loop: Header=BB3_9 Depth=1
	v_add_co_u32 v5, vcc_lo, s24, v5
	v_add_co_ci_u32_e32 v6, vcc_lo, s14, v6, vcc_lo
	v_mov_b32_e32 v15, 5
	global_load_b64 v[5:6], v[5:6], off
	s_waitcnt vmcnt(0)
	v_subrev_nc_u32_e32 v7, s8, v5
	v_cmp_ne_u32_e64 s3, v6, v5
	s_delay_alu instid0(VALU_DEP_2) | instskip(SKIP_1) | instid1(VALU_DEP_1)
	v_cmp_lt_i32_e32 vcc_lo, -1, v7
	v_cmp_gt_i32_e64 s2, s18, v7
	s_and_b32 s2, vcc_lo, s2
	s_delay_alu instid0(SALU_CYCLE_1) | instskip(NEXT) | instid1(SALU_CYCLE_1)
	s_xor_b32 s2, s2, -1
	s_or_b32 s2, s3, s2
	s_and_not1_b32 s3, s31, exec_lo
	s_and_b32 s2, s2, exec_lo
	s_delay_alu instid0(SALU_CYCLE_1)
	s_or_b32 s3, s3, s2
.LBB3_12:                               ;   in Loop: Header=BB3_9 Depth=1
	s_or_b32 exec_lo, exec_lo, s16
	s_mov_b32 s2, -1
	s_mov_b32 s16, -1
	s_and_saveexec_b32 s29, s3
	s_cbranch_execz .LBB3_7
; %bb.13:                               ;   in Loop: Header=BB3_9 Depth=1
	s_and_b32 vcc_lo, exec_lo, s21
	s_cbranch_vccz .LBB3_29
; %bb.14:                               ;   in Loop: Header=BB3_9 Depth=1
	s_and_b32 vcc_lo, exec_lo, s22
	s_cbranch_vccz .LBB3_30
; %bb.15:                               ;   in Loop: Header=BB3_9 Depth=1
	s_mov_b32 s3, 0
	s_mov_b32 s33, 0
	s_mov_b32 s16, s3
                                        ; implicit-def: $sgpr2
                                        ; implicit-def: $sgpr30
                                        ; implicit-def: $sgpr34
	s_branch .LBB3_17
.LBB3_16:                               ;   in Loop: Header=BB3_17 Depth=2
	s_or_b32 exec_lo, exec_lo, s38
	s_xor_b32 s36, s36, -1
	s_and_b32 s35, exec_lo, s35
	s_delay_alu instid0(SALU_CYCLE_1)
	s_or_b32 s3, s35, s3
	s_and_not1_b32 s30, s30, exec_lo
	s_and_b32 s35, s34, exec_lo
	s_and_not1_b32 s2, s2, exec_lo
	s_and_b32 s36, s36, exec_lo
	s_or_b32 s30, s30, s35
	s_or_b32 s2, s2, s36
	s_and_not1_b32 exec_lo, exec_lo, s3
	s_cbranch_execz .LBB3_28
.LBB3_17:                               ;   Parent Loop BB3_9 Depth=1
                                        ; =>  This Loop Header: Depth=2
                                        ;       Child Loop BB3_21 Depth 3
	s_and_not1_b32 vcc_lo, exec_lo, s23
	s_mov_b32 s35, -1
	s_cbranch_vccnz .LBB3_25
; %bb.18:                               ;   in Loop: Header=BB3_17 Depth=2
	s_lshl_b64 s[36:37], s[16:17], 3
	s_mov_b32 s38, 0
	v_add_co_u32 v5, vcc_lo, v11, s36
	v_add_co_ci_u32_e32 v6, vcc_lo, s37, v12, vcc_lo
	s_mov_b32 s39, s12
                                        ; implicit-def: $sgpr37
                                        ; implicit-def: $sgpr36
                                        ; implicit-def: $sgpr40
                                        ; implicit-def: $sgpr41
	s_set_inst_prefetch_distance 0x1
	s_branch .LBB3_21
	.p2align	6
.LBB3_19:                               ;   in Loop: Header=BB3_21 Depth=3
	s_or_b32 exec_lo, exec_lo, s45
	v_mov_b32_e32 v15, 2
	s_and_not1_b32 s41, s41, exec_lo
	s_and_b32 s45, s46, exec_lo
	s_and_not1_b32 s40, s40, exec_lo
	s_and_b32 s44, s44, exec_lo
	s_or_b32 s41, s41, s45
	s_or_b32 s40, s40, s44
.LBB3_20:                               ;   in Loop: Header=BB3_21 Depth=3
	s_or_b32 exec_lo, exec_lo, s43
	s_xor_b32 s43, s41, -1
	s_and_b32 s44, exec_lo, s40
	s_delay_alu instid0(SALU_CYCLE_1)
	s_or_b32 s38, s44, s38
	s_and_not1_b32 s36, s36, exec_lo
	s_and_b32 s42, s42, exec_lo
	s_and_not1_b32 s37, s37, exec_lo
	s_and_b32 s43, s43, exec_lo
	s_or_b32 s36, s36, s42
	s_or_b32 s37, s37, s43
	s_and_not1_b32 exec_lo, exec_lo, s38
	s_cbranch_execz .LBB3_24
.LBB3_21:                               ;   Parent Loop BB3_9 Depth=1
                                        ;     Parent Loop BB3_17 Depth=2
                                        ; =>    This Inner Loop Header: Depth=3
	global_load_b64 v[7:8], v[5:6], off
	v_mov_b32_e32 v15, 1
	s_mov_b32 s42, -1
	s_or_b32 s41, s41, exec_lo
	s_or_b32 s40, s40, exec_lo
	s_mov_b32 s43, exec_lo
	s_waitcnt vmcnt(0)
	v_cmpx_neq_f64_e32 0x7ff00000, v[7:8]
	s_xor_b32 s43, exec_lo, s43
	s_cbranch_execz .LBB3_20
; %bb.22:                               ;   in Loop: Header=BB3_21 Depth=3
	s_mov_b32 s44, -1
	s_mov_b32 s46, -1
	s_mov_b32 s45, exec_lo
	v_cmpx_o_f64_e32 v[7:8], v[7:8]
	s_cbranch_execz .LBB3_19
; %bb.23:                               ;   in Loop: Header=BB3_21 Depth=3
	s_add_i32 s39, s39, -1
	v_add_co_u32 v5, vcc_lo, v5, 8
	s_cmp_eq_u32 s39, 0
	v_add_co_ci_u32_e32 v6, vcc_lo, 0, v6, vcc_lo
	s_cselect_b32 s44, -1, 0
	s_xor_b32 s46, exec_lo, -1
	s_or_not1_b32 s44, s44, exec_lo
	s_branch .LBB3_19
.LBB3_24:                               ;   in Loop: Header=BB3_17 Depth=2
	s_set_inst_prefetch_distance 0x2
	s_or_b32 exec_lo, exec_lo, s38
	s_branch .LBB3_26
.LBB3_25:                               ;   in Loop: Header=BB3_17 Depth=2
	s_mov_b32 s37, -1
                                        ; implicit-def: $sgpr36
                                        ; implicit-def: $vgpr15
.LBB3_26:                               ;   in Loop: Header=BB3_17 Depth=2
	s_and_not1_b32 s34, s34, exec_lo
	s_and_b32 s38, s36, exec_lo
	s_delay_alu instid0(SALU_CYCLE_1)
	s_or_b32 s34, s34, s38
	s_and_saveexec_b32 s38, s37
	s_cbranch_execz .LBB3_16
; %bb.27:                               ;   in Loop: Header=BB3_17 Depth=2
	s_add_i32 s33, s33, 1
	s_add_i32 s16, s16, s12
	s_cmp_eq_u32 s33, s13
                                        ; implicit-def: $vgpr15
	s_cselect_b32 s35, -1, 0
	s_and_not1_b32 s36, s36, exec_lo
	s_and_not1_b32 s34, s34, exec_lo
	s_or_not1_b32 s35, s35, exec_lo
	s_branch .LBB3_16
.LBB3_28:                               ;   in Loop: Header=BB3_9 Depth=1
	s_or_b32 exec_lo, exec_lo, s3
	s_branch .LBB3_46
.LBB3_29:                               ;   in Loop: Header=BB3_9 Depth=1
	s_mov_b32 s2, 0
	s_mov_b32 s30, -1
	s_cbranch_execnz .LBB3_31
	s_branch .LBB3_46
.LBB3_30:                               ;   in Loop: Header=BB3_9 Depth=1
	s_mov_b32 s30, -1
	s_branch .LBB3_46
.LBB3_31:                               ;   in Loop: Header=BB3_9 Depth=1
	s_and_b32 vcc_lo, exec_lo, s23
	s_cbranch_vccz .LBB3_50
; %bb.32:                               ;   in Loop: Header=BB3_9 Depth=1
	s_mov_b32 s3, 0
	s_mov_b32 s33, 0
	;; [unrolled: 1-line block ×3, first 2 shown]
                                        ; implicit-def: $sgpr2
                                        ; implicit-def: $sgpr30
                                        ; implicit-def: $sgpr34
	s_branch .LBB3_34
.LBB3_33:                               ;   in Loop: Header=BB3_34 Depth=2
	s_or_b32 exec_lo, exec_lo, s38
	s_xor_b32 s36, s36, -1
	s_and_b32 s35, exec_lo, s35
	s_delay_alu instid0(SALU_CYCLE_1)
	s_or_b32 s3, s35, s3
	s_and_not1_b32 s30, s30, exec_lo
	s_and_b32 s35, s34, exec_lo
	s_and_not1_b32 s2, s2, exec_lo
	s_and_b32 s36, s36, exec_lo
	s_or_b32 s30, s30, s35
	s_or_b32 s2, s2, s36
	s_and_not1_b32 exec_lo, exec_lo, s3
	s_cbranch_execz .LBB3_45
.LBB3_34:                               ;   Parent Loop BB3_9 Depth=1
                                        ; =>  This Loop Header: Depth=2
                                        ;       Child Loop BB3_38 Depth 3
	s_and_not1_b32 vcc_lo, exec_lo, s22
	s_mov_b32 s35, -1
	s_cbranch_vccnz .LBB3_42
; %bb.35:                               ;   in Loop: Header=BB3_34 Depth=2
	s_lshl_b64 s[36:37], s[16:17], 3
	s_mov_b32 s38, 0
	v_add_co_u32 v5, vcc_lo, v11, s36
	v_add_co_ci_u32_e32 v6, vcc_lo, s37, v12, vcc_lo
	s_mov_b32 s39, s13
                                        ; implicit-def: $sgpr37
                                        ; implicit-def: $sgpr36
                                        ; implicit-def: $sgpr40
                                        ; implicit-def: $sgpr41
	s_set_inst_prefetch_distance 0x1
	s_branch .LBB3_38
	.p2align	6
.LBB3_36:                               ;   in Loop: Header=BB3_38 Depth=3
	s_or_b32 exec_lo, exec_lo, s45
	v_mov_b32_e32 v15, 2
	s_and_not1_b32 s41, s41, exec_lo
	s_and_b32 s45, s46, exec_lo
	s_and_not1_b32 s40, s40, exec_lo
	s_and_b32 s44, s44, exec_lo
	s_or_b32 s41, s41, s45
	s_or_b32 s40, s40, s44
.LBB3_37:                               ;   in Loop: Header=BB3_38 Depth=3
	s_or_b32 exec_lo, exec_lo, s43
	s_xor_b32 s43, s41, -1
	s_and_b32 s44, exec_lo, s40
	s_delay_alu instid0(SALU_CYCLE_1)
	s_or_b32 s38, s44, s38
	s_and_not1_b32 s36, s36, exec_lo
	s_and_b32 s42, s42, exec_lo
	s_and_not1_b32 s37, s37, exec_lo
	s_and_b32 s43, s43, exec_lo
	s_or_b32 s36, s36, s42
	s_or_b32 s37, s37, s43
	s_and_not1_b32 exec_lo, exec_lo, s38
	s_cbranch_execz .LBB3_41
.LBB3_38:                               ;   Parent Loop BB3_9 Depth=1
                                        ;     Parent Loop BB3_34 Depth=2
                                        ; =>    This Inner Loop Header: Depth=3
	global_load_b64 v[7:8], v[5:6], off
	v_mov_b32_e32 v15, 1
	s_mov_b32 s42, -1
	s_or_b32 s41, s41, exec_lo
	s_or_b32 s40, s40, exec_lo
	s_mov_b32 s43, exec_lo
	s_waitcnt vmcnt(0)
	v_cmpx_neq_f64_e32 0x7ff00000, v[7:8]
	s_xor_b32 s43, exec_lo, s43
	s_cbranch_execz .LBB3_37
; %bb.39:                               ;   in Loop: Header=BB3_38 Depth=3
	s_mov_b32 s44, -1
	s_mov_b32 s46, -1
	s_mov_b32 s45, exec_lo
	v_cmpx_o_f64_e32 v[7:8], v[7:8]
	s_cbranch_execz .LBB3_36
; %bb.40:                               ;   in Loop: Header=BB3_38 Depth=3
	s_add_i32 s39, s39, -1
	v_add_co_u32 v5, vcc_lo, v5, 8
	s_cmp_eq_u32 s39, 0
	v_add_co_ci_u32_e32 v6, vcc_lo, 0, v6, vcc_lo
	s_cselect_b32 s44, -1, 0
	s_xor_b32 s46, exec_lo, -1
	s_or_not1_b32 s44, s44, exec_lo
	s_branch .LBB3_36
.LBB3_41:                               ;   in Loop: Header=BB3_34 Depth=2
	s_set_inst_prefetch_distance 0x2
	s_or_b32 exec_lo, exec_lo, s38
	s_branch .LBB3_43
.LBB3_42:                               ;   in Loop: Header=BB3_34 Depth=2
	s_mov_b32 s37, -1
                                        ; implicit-def: $sgpr36
                                        ; implicit-def: $vgpr15
.LBB3_43:                               ;   in Loop: Header=BB3_34 Depth=2
	s_and_not1_b32 s34, s34, exec_lo
	s_and_b32 s38, s36, exec_lo
	s_delay_alu instid0(SALU_CYCLE_1)
	s_or_b32 s34, s34, s38
	s_and_saveexec_b32 s38, s37
	s_cbranch_execz .LBB3_33
; %bb.44:                               ;   in Loop: Header=BB3_34 Depth=2
	s_add_i32 s33, s33, 1
	s_add_i32 s16, s16, s13
	s_cmp_eq_u32 s33, s12
                                        ; implicit-def: $vgpr15
	s_cselect_b32 s35, -1, 0
	s_and_not1_b32 s36, s36, exec_lo
	s_and_not1_b32 s34, s34, exec_lo
	s_or_not1_b32 s35, s35, exec_lo
	s_branch .LBB3_33
.LBB3_45:                               ;   in Loop: Header=BB3_9 Depth=1
	s_or_b32 exec_lo, exec_lo, s3
.LBB3_46:                               ;   in Loop: Header=BB3_9 Depth=1
	s_mov_b32 s3, -1
	s_and_saveexec_b32 s16, s2
	s_cbranch_execz .LBB3_6
.LBB3_47:                               ;   in Loop: Header=BB3_9 Depth=1
	s_and_b32 vcc_lo, exec_lo, s9
	s_mov_b32 s2, -1
	s_cbranch_vccz .LBB3_51
; %bb.48:                               ;   in Loop: Header=BB3_9 Depth=1
	s_and_b32 vcc_lo, exec_lo, s10
	s_cbranch_vccz .LBB3_52
; %bb.49:                               ;   in Loop: Header=BB3_9 Depth=1
	v_cmp_le_i32_e32 vcc_lo, v0, v14
	v_mov_b32_e32 v15, 7
	s_or_b32 s33, s30, exec_lo
	s_and_b32 s3, vcc_lo, exec_lo
	s_cbranch_execz .LBB3_53
	s_branch .LBB3_54
.LBB3_50:                               ;   in Loop: Header=BB3_9 Depth=1
	s_mov_b32 s2, -1
	s_mov_b32 s3, -1
	s_and_saveexec_b32 s16, s2
	s_cbranch_execz .LBB3_6
	s_branch .LBB3_47
.LBB3_51:                               ;   in Loop: Header=BB3_9 Depth=1
	s_mov_b32 s33, s30
	s_branch .LBB3_54
.LBB3_52:                               ;   in Loop: Header=BB3_9 Depth=1
	s_mov_b32 s3, 0
	s_mov_b32 s33, s30
.LBB3_53:                               ;   in Loop: Header=BB3_9 Depth=1
	v_cmp_ge_i32_e32 vcc_lo, v0, v14
	v_mov_b32_e32 v15, 7
	s_and_not1_b32 s3, s3, exec_lo
	s_or_b32 s33, s33, exec_lo
	s_and_b32 s34, vcc_lo, exec_lo
	s_delay_alu instid0(SALU_CYCLE_1)
	s_or_b32 s3, s3, s34
.LBB3_54:                               ;   in Loop: Header=BB3_9 Depth=1
	s_delay_alu instid0(SALU_CYCLE_1)
	s_and_saveexec_b32 s34, s3
	s_cbranch_execz .LBB3_5
; %bb.55:                               ;   in Loop: Header=BB3_9 Depth=1
	s_or_b32 s31, s11, s31
	s_mov_b32 s3, s33
	s_xor_b32 s2, s31, -1
	s_delay_alu instid0(SALU_CYCLE_1)
	s_and_saveexec_b32 s35, s2
	s_cbranch_execz .LBB3_57
; %bb.56:                               ;   in Loop: Header=BB3_9 Depth=1
	global_load_b32 v3, v[3:4], off offset:-4
	v_mov_b32_e32 v15, 6
	s_and_not1_b32 s31, s31, exec_lo
	s_waitcnt vmcnt(0)
	v_subrev_nc_u32_e32 v4, s8, v3
	v_cmp_gt_i32_e64 s3, v13, v3
	s_delay_alu instid0(VALU_DEP_2) | instskip(SKIP_1) | instid1(VALU_DEP_1)
	v_cmp_lt_i32_e32 vcc_lo, -1, v4
	v_cmp_gt_i32_e64 s2, s18, v4
	s_and_b32 s2, vcc_lo, s2
	s_delay_alu instid0(SALU_CYCLE_1) | instskip(NEXT) | instid1(SALU_CYCLE_1)
	s_xor_b32 s2, s2, -1
	s_or_b32 s2, s3, s2
	s_or_b32 s3, s33, exec_lo
	s_and_b32 s2, s2, exec_lo
	s_delay_alu instid0(SALU_CYCLE_1)
	s_or_b32 s31, s31, s2
.LBB3_57:                               ;   in Loop: Header=BB3_9 Depth=1
	s_or_b32 exec_lo, exec_lo, s35
	s_mov_b32 s2, -1
	s_and_saveexec_b32 s35, s31
	s_cbranch_execz .LBB3_4
; %bb.58:                               ;   in Loop: Header=BB3_9 Depth=1
	v_add_nc_u32_e32 v1, 1, v1
	v_add_co_u32 v11, s2, v11, s6
	s_delay_alu instid0(VALU_DEP_1) | instskip(NEXT) | instid1(VALU_DEP_3)
	v_add_co_ci_u32_e64 v12, s2, s7, v12, s2
	v_cmp_ge_i32_e32 vcc_lo, v1, v9
	s_and_not1_b32 s3, s3, exec_lo
                                        ; implicit-def: $vgpr15
	s_or_not1_b32 s2, vcc_lo, exec_lo
	s_branch .LBB3_4
.LBB3_59:
	s_or_b32 exec_lo, exec_lo, s15
	s_delay_alu instid0(SALU_CYCLE_1)
	s_and_b32 s2, s25, exec_lo
.LBB3_60:
	s_or_b32 exec_lo, exec_lo, s20
	s_delay_alu instid0(SALU_CYCLE_1)
	s_or_not1_b32 s4, s2, exec_lo
.LBB3_61:
	s_or_b32 exec_lo, exec_lo, s19
	s_delay_alu instid0(SALU_CYCLE_1)
	s_and_b32 exec_lo, exec_lo, s4
	s_cbranch_execz .LBB3_63
; %bb.62:
	s_load_b64 s[0:1], s[0:1], 0x48
	v_mov_b32_e32 v0, 0
	s_waitcnt lgkmcnt(0)
	global_store_b32 v0, v15, s[0:1]
.LBB3_63:
	s_nop 0
	s_sendmsg sendmsg(MSG_DEALLOC_VGPRS)
	s_endpgm
	.section	.rodata,"a",@progbits
	.p2align	6, 0x0
	.amdhsa_kernel _ZN9rocsparseL25check_matrix_gebsr_deviceILj256EdiiEEv20rocsparse_direction_T2_S2_T1_S2_S2_PKT0_PKS3_PKS2_SA_21rocsparse_index_base_22rocsparse_matrix_type_20rocsparse_fill_mode_23rocsparse_storage_mode_P22rocsparse_data_status_
		.amdhsa_group_segment_fixed_size 0
		.amdhsa_private_segment_fixed_size 0
		.amdhsa_kernarg_size 80
		.amdhsa_user_sgpr_count 15
		.amdhsa_user_sgpr_dispatch_ptr 0
		.amdhsa_user_sgpr_queue_ptr 0
		.amdhsa_user_sgpr_kernarg_segment_ptr 1
		.amdhsa_user_sgpr_dispatch_id 0
		.amdhsa_user_sgpr_private_segment_size 0
		.amdhsa_wavefront_size32 1
		.amdhsa_uses_dynamic_stack 0
		.amdhsa_enable_private_segment 0
		.amdhsa_system_sgpr_workgroup_id_x 1
		.amdhsa_system_sgpr_workgroup_id_y 0
		.amdhsa_system_sgpr_workgroup_id_z 0
		.amdhsa_system_sgpr_workgroup_info 0
		.amdhsa_system_vgpr_workitem_id 0
		.amdhsa_next_free_vgpr 16
		.amdhsa_next_free_sgpr 47
		.amdhsa_reserve_vcc 1
		.amdhsa_float_round_mode_32 0
		.amdhsa_float_round_mode_16_64 0
		.amdhsa_float_denorm_mode_32 3
		.amdhsa_float_denorm_mode_16_64 3
		.amdhsa_dx10_clamp 1
		.amdhsa_ieee_mode 1
		.amdhsa_fp16_overflow 0
		.amdhsa_workgroup_processor_mode 1
		.amdhsa_memory_ordered 1
		.amdhsa_forward_progress 0
		.amdhsa_shared_vgpr_count 0
		.amdhsa_exception_fp_ieee_invalid_op 0
		.amdhsa_exception_fp_denorm_src 0
		.amdhsa_exception_fp_ieee_div_zero 0
		.amdhsa_exception_fp_ieee_overflow 0
		.amdhsa_exception_fp_ieee_underflow 0
		.amdhsa_exception_fp_ieee_inexact 0
		.amdhsa_exception_int_div_zero 0
	.end_amdhsa_kernel
	.section	.text._ZN9rocsparseL25check_matrix_gebsr_deviceILj256EdiiEEv20rocsparse_direction_T2_S2_T1_S2_S2_PKT0_PKS3_PKS2_SA_21rocsparse_index_base_22rocsparse_matrix_type_20rocsparse_fill_mode_23rocsparse_storage_mode_P22rocsparse_data_status_,"axG",@progbits,_ZN9rocsparseL25check_matrix_gebsr_deviceILj256EdiiEEv20rocsparse_direction_T2_S2_T1_S2_S2_PKT0_PKS3_PKS2_SA_21rocsparse_index_base_22rocsparse_matrix_type_20rocsparse_fill_mode_23rocsparse_storage_mode_P22rocsparse_data_status_,comdat
.Lfunc_end3:
	.size	_ZN9rocsparseL25check_matrix_gebsr_deviceILj256EdiiEEv20rocsparse_direction_T2_S2_T1_S2_S2_PKT0_PKS3_PKS2_SA_21rocsparse_index_base_22rocsparse_matrix_type_20rocsparse_fill_mode_23rocsparse_storage_mode_P22rocsparse_data_status_, .Lfunc_end3-_ZN9rocsparseL25check_matrix_gebsr_deviceILj256EdiiEEv20rocsparse_direction_T2_S2_T1_S2_S2_PKT0_PKS3_PKS2_SA_21rocsparse_index_base_22rocsparse_matrix_type_20rocsparse_fill_mode_23rocsparse_storage_mode_P22rocsparse_data_status_
                                        ; -- End function
	.section	.AMDGPU.csdata,"",@progbits
; Kernel info:
; codeLenInByte = 1896
; NumSgprs: 49
; NumVgprs: 16
; ScratchSize: 0
; MemoryBound: 0
; FloatMode: 240
; IeeeMode: 1
; LDSByteSize: 0 bytes/workgroup (compile time only)
; SGPRBlocks: 6
; VGPRBlocks: 1
; NumSGPRsForWavesPerEU: 49
; NumVGPRsForWavesPerEU: 16
; Occupancy: 16
; WaveLimiterHint : 0
; COMPUTE_PGM_RSRC2:SCRATCH_EN: 0
; COMPUTE_PGM_RSRC2:USER_SGPR: 15
; COMPUTE_PGM_RSRC2:TRAP_HANDLER: 0
; COMPUTE_PGM_RSRC2:TGID_X_EN: 1
; COMPUTE_PGM_RSRC2:TGID_Y_EN: 0
; COMPUTE_PGM_RSRC2:TGID_Z_EN: 0
; COMPUTE_PGM_RSRC2:TIDIG_COMP_CNT: 0
	.section	.text._ZN9rocsparseL25check_matrix_gebsr_deviceILj256E21rocsparse_complex_numIfEiiEEv20rocsparse_direction_T2_S4_T1_S4_S4_PKT0_PKS5_PKS4_SC_21rocsparse_index_base_22rocsparse_matrix_type_20rocsparse_fill_mode_23rocsparse_storage_mode_P22rocsparse_data_status_,"axG",@progbits,_ZN9rocsparseL25check_matrix_gebsr_deviceILj256E21rocsparse_complex_numIfEiiEEv20rocsparse_direction_T2_S4_T1_S4_S4_PKT0_PKS5_PKS4_SC_21rocsparse_index_base_22rocsparse_matrix_type_20rocsparse_fill_mode_23rocsparse_storage_mode_P22rocsparse_data_status_,comdat
	.globl	_ZN9rocsparseL25check_matrix_gebsr_deviceILj256E21rocsparse_complex_numIfEiiEEv20rocsparse_direction_T2_S4_T1_S4_S4_PKT0_PKS5_PKS4_SC_21rocsparse_index_base_22rocsparse_matrix_type_20rocsparse_fill_mode_23rocsparse_storage_mode_P22rocsparse_data_status_ ; -- Begin function _ZN9rocsparseL25check_matrix_gebsr_deviceILj256E21rocsparse_complex_numIfEiiEEv20rocsparse_direction_T2_S4_T1_S4_S4_PKT0_PKS5_PKS4_SC_21rocsparse_index_base_22rocsparse_matrix_type_20rocsparse_fill_mode_23rocsparse_storage_mode_P22rocsparse_data_status_
	.p2align	8
	.type	_ZN9rocsparseL25check_matrix_gebsr_deviceILj256E21rocsparse_complex_numIfEiiEEv20rocsparse_direction_T2_S4_T1_S4_S4_PKT0_PKS5_PKS4_SC_21rocsparse_index_base_22rocsparse_matrix_type_20rocsparse_fill_mode_23rocsparse_storage_mode_P22rocsparse_data_status_,@function
_ZN9rocsparseL25check_matrix_gebsr_deviceILj256E21rocsparse_complex_numIfEiiEEv20rocsparse_direction_T2_S4_T1_S4_S4_PKT0_PKS5_PKS4_SC_21rocsparse_index_base_22rocsparse_matrix_type_20rocsparse_fill_mode_23rocsparse_storage_mode_P22rocsparse_data_status_: ; @_ZN9rocsparseL25check_matrix_gebsr_deviceILj256E21rocsparse_complex_numIfEiiEEv20rocsparse_direction_T2_S4_T1_S4_S4_PKT0_PKS5_PKS4_SC_21rocsparse_index_base_22rocsparse_matrix_type_20rocsparse_fill_mode_23rocsparse_storage_mode_P22rocsparse_data_status_
; %bb.0:
	s_load_b128 s[16:19], s[0:1], 0x0
	v_lshl_or_b32 v0, s15, 8, v0
	s_mov_b32 s2, exec_lo
	s_waitcnt lgkmcnt(0)
	s_delay_alu instid0(VALU_DEP_1)
	v_cmpx_gt_i32_e64 s17, v0
	s_cbranch_execz .LBB4_63
; %bb.1:
	s_load_b64 s[2:3], s[0:1], 0x20
	v_ashrrev_i32_e32 v1, 31, v0
	v_mov_b32_e32 v13, 3
	s_mov_b32 s4, -1
	s_delay_alu instid0(VALU_DEP_2) | instskip(SKIP_1) | instid1(VALU_DEP_1)
	v_lshlrev_b64 v[1:2], 2, v[0:1]
	s_waitcnt lgkmcnt(0)
	v_add_co_u32 v1, vcc_lo, s2, v1
	s_delay_alu instid0(VALU_DEP_2)
	v_add_co_ci_u32_e32 v2, vcc_lo, s3, v2, vcc_lo
	s_load_b32 s2, s[2:3], 0x0
	global_load_b64 v[1:2], v[1:2], off
	s_waitcnt vmcnt(0) lgkmcnt(0)
	v_subrev_nc_u32_e32 v7, s2, v2
	v_subrev_nc_u32_e32 v8, s2, v1
	v_cmp_lt_i32_e64 s2, v2, v1
	s_delay_alu instid0(VALU_DEP_3) | instskip(NEXT) | instid1(VALU_DEP_3)
	v_cmp_gt_i32_e32 vcc_lo, 0, v7
	v_cmp_lt_i32_e64 s3, -1, v8
	s_delay_alu instid0(VALU_DEP_3) | instskip(NEXT) | instid1(SALU_CYCLE_1)
	s_or_b32 s2, vcc_lo, s2
	s_xor_b32 s5, s2, -1
	s_mov_b32 s2, 0
	s_delay_alu instid0(VALU_DEP_1) | instskip(NEXT) | instid1(SALU_CYCLE_1)
	s_and_b32 s3, s3, s5
	s_and_saveexec_b32 s19, s3
	s_cbranch_execz .LBB4_61
; %bb.2:
	v_mov_b32_e32 v13, 3
	s_mov_b32 s20, exec_lo
	v_cmpx_lt_i32_e64 v1, v2
	s_cbranch_execz .LBB4_60
; %bb.3:
	s_clause 0x1
	s_load_b128 s[12:15], s[0:1], 0x10
	s_load_b256 s[4:11], s[0:1], 0x28
	s_cmp_lg_u32 s16, 0
	s_mov_b32 s17, 0
	s_cselect_b32 s21, -1, 0
                                        ; implicit-def: $sgpr27
                                        ; implicit-def: $sgpr28
                                        ; implicit-def: $sgpr29
	s_waitcnt lgkmcnt(0)
	s_mul_i32 s2, s13, s12
	s_mul_hi_i32 s3, s13, s12
	v_mad_u64_u32 v[3:4], null, s2, v8, 0
	s_cmp_gt_i32 s13, 0
	s_cselect_b32 s22, -1, 0
	s_cmp_gt_i32 s12, 0
	s_cselect_b32 s23, -1, 0
	s_delay_alu instid0(VALU_DEP_1) | instskip(SKIP_3) | instid1(VALU_DEP_1)
	v_mov_b32_e32 v1, v4
	s_cmp_lg_u32 s9, 0
	s_cselect_b32 s9, -1, 0
	s_cmp_lg_u32 s10, 0
	v_mad_u64_u32 v[4:5], null, s3, v8, v[1:2]
	v_mov_b32_e32 v2, 0
	s_cselect_b32 s24, -1, 0
	s_cmp_lg_u32 s11, 0
	v_mov_b32_e32 v1, v8
	s_cselect_b32 s25, -1, 0
	s_add_u32 s26, s6, -4
	s_delay_alu instid0(VALU_DEP_3) | instskip(NEXT) | instid1(VALU_DEP_1)
	v_lshlrev_b64 v[3:4], 3, v[3:4]
	v_add_co_u32 v9, vcc_lo, s14, v3
	s_delay_alu instid0(VALU_DEP_2)
	v_add_co_ci_u32_e32 v10, vcc_lo, s15, v4, vcc_lo
	s_addc_u32 s14, s7, -1
	s_lshl_b64 s[6:7], s[2:3], 3
	s_mov_b32 s15, 0
	s_branch .LBB4_9
.LBB4_4:                                ;   in Loop: Header=BB4_9 Depth=1
	s_or_b32 exec_lo, exec_lo, s35
	s_delay_alu instid0(SALU_CYCLE_1)
	s_and_not1_b32 s11, s11, exec_lo
	s_and_b32 s3, s3, exec_lo
	s_or_not1_b32 s2, s2, exec_lo
	s_or_b32 s11, s11, s3
.LBB4_5:                                ;   in Loop: Header=BB4_9 Depth=1
	s_or_b32 exec_lo, exec_lo, s16
	s_delay_alu instid0(SALU_CYCLE_1)
	s_and_not1_b32 s3, s33, exec_lo
	s_and_b32 s11, s11, exec_lo
	s_or_not1_b32 s2, s2, exec_lo
	s_or_b32 s33, s3, s11
.LBB4_6:                                ;   in Loop: Header=BB4_9 Depth=1
	s_or_b32 exec_lo, exec_lo, s10
	s_delay_alu instid0(SALU_CYCLE_1)
	s_or_not1_b32 s3, s33, exec_lo
	s_or_not1_b32 s2, s2, exec_lo
.LBB4_7:                                ;   in Loop: Header=BB4_9 Depth=1
	s_or_b32 exec_lo, exec_lo, s31
	s_delay_alu instid0(SALU_CYCLE_1)
	s_and_not1_b32 s10, s29, exec_lo
	s_and_b32 s3, s3, exec_lo
	s_and_not1_b32 s11, s28, exec_lo
	s_and_b32 s2, s2, exec_lo
	s_or_b32 s29, s10, s3
	s_or_b32 s28, s11, s2
.LBB4_8:                                ;   in Loop: Header=BB4_9 Depth=1
	s_or_b32 exec_lo, exec_lo, s30
	s_delay_alu instid0(SALU_CYCLE_1) | instskip(NEXT) | instid1(SALU_CYCLE_1)
	s_and_b32 s2, exec_lo, s28
	s_or_b32 s15, s2, s15
	s_and_not1_b32 s2, s27, exec_lo
	s_and_b32 s3, s29, exec_lo
	s_delay_alu instid0(SALU_CYCLE_1)
	s_or_b32 s27, s2, s3
	s_and_not1_b32 exec_lo, exec_lo, s15
	s_cbranch_execz .LBB4_59
.LBB4_9:                                ; =>This Loop Header: Depth=1
                                        ;     Child Loop BB4_34 Depth 2
                                        ;       Child Loop BB4_38 Depth 3
                                        ;     Child Loop BB4_17 Depth 2
                                        ;       Child Loop BB4_21 Depth 3
	v_lshlrev_b64 v[5:6], 2, v[1:2]
	v_mov_b32_e32 v13, 4
	s_or_b32 s29, s29, exec_lo
	s_or_b32 s28, s28, exec_lo
	s_delay_alu instid0(VALU_DEP_2) | instskip(NEXT) | instid1(VALU_DEP_3)
	v_add_co_u32 v3, vcc_lo, s4, v5
	v_add_co_ci_u32_e32 v4, vcc_lo, s5, v6, vcc_lo
	global_load_b32 v11, v[3:4], off
	s_waitcnt vmcnt(0)
	v_subrev_nc_u32_e32 v12, s8, v11
	s_delay_alu instid0(VALU_DEP_1) | instskip(SKIP_1) | instid1(VALU_DEP_1)
	v_cmp_lt_i32_e32 vcc_lo, -1, v12
	v_cmp_gt_i32_e64 s2, s18, v12
	s_and_b32 s2, vcc_lo, s2
	s_delay_alu instid0(SALU_CYCLE_1)
	s_and_saveexec_b32 s30, s2
	s_cbranch_execz .LBB4_8
; %bb.10:                               ;   in Loop: Header=BB4_9 Depth=1
	v_cmp_le_i32_e64 s34, v1, v8
	v_mov_b32_e32 v13, 4
	s_mov_b32 s10, exec_lo
	s_delay_alu instid0(VALU_DEP_2)
	s_mov_b32 s11, s34
	v_cmpx_gt_i32_e64 v1, v8
	s_cbranch_execz .LBB4_12
; %bb.11:                               ;   in Loop: Header=BB4_9 Depth=1
	v_add_co_u32 v5, vcc_lo, s26, v5
	v_add_co_ci_u32_e32 v6, vcc_lo, s14, v6, vcc_lo
	global_load_b64 v[5:6], v[5:6], off
	s_waitcnt vmcnt(0)
	v_subrev_nc_u32_e32 v13, s8, v5
	v_cmp_ne_u32_e64 s3, v6, v5
	s_delay_alu instid0(VALU_DEP_2) | instskip(SKIP_2) | instid1(VALU_DEP_2)
	v_cmp_lt_i32_e32 vcc_lo, -1, v13
	v_cmp_gt_i32_e64 s2, s18, v13
	v_mov_b32_e32 v13, 5
	s_and_b32 s2, vcc_lo, s2
	s_delay_alu instid0(SALU_CYCLE_1) | instskip(NEXT) | instid1(SALU_CYCLE_1)
	s_xor_b32 s2, s2, -1
	s_or_b32 s2, s3, s2
	s_and_not1_b32 s3, s34, exec_lo
	s_and_b32 s2, s2, exec_lo
	s_delay_alu instid0(SALU_CYCLE_1)
	s_or_b32 s11, s3, s2
.LBB4_12:                               ;   in Loop: Header=BB4_9 Depth=1
	s_or_b32 exec_lo, exec_lo, s10
	s_mov_b32 s2, -1
	s_mov_b32 s3, -1
	s_and_saveexec_b32 s31, s11
	s_cbranch_execz .LBB4_7
; %bb.13:                               ;   in Loop: Header=BB4_9 Depth=1
	s_and_b32 vcc_lo, exec_lo, s21
	s_cbranch_vccz .LBB4_29
; %bb.14:                               ;   in Loop: Header=BB4_9 Depth=1
	s_and_b32 vcc_lo, exec_lo, s22
	s_cbranch_vccz .LBB4_30
; %bb.15:                               ;   in Loop: Header=BB4_9 Depth=1
	s_mov_b32 s35, 0
	s_mov_b32 s36, 0
	s_mov_b32 s16, s35
                                        ; implicit-def: $sgpr3
                                        ; implicit-def: $sgpr33
                                        ; implicit-def: $sgpr37
	s_branch .LBB4_17
.LBB4_16:                               ;   in Loop: Header=BB4_17 Depth=2
	s_or_b32 exec_lo, exec_lo, s2
	s_xor_b32 s2, s39, -1
	s_and_b32 s10, exec_lo, s38
	s_delay_alu instid0(SALU_CYCLE_1)
	s_or_b32 s35, s10, s35
	s_and_not1_b32 s10, s33, exec_lo
	s_and_b32 s11, s37, exec_lo
	s_and_not1_b32 s3, s3, exec_lo
	s_and_b32 s2, s2, exec_lo
	s_or_b32 s33, s10, s11
	s_or_b32 s3, s3, s2
	s_and_not1_b32 exec_lo, exec_lo, s35
	s_cbranch_execz .LBB4_28
.LBB4_17:                               ;   Parent Loop BB4_9 Depth=1
                                        ; =>  This Loop Header: Depth=2
                                        ;       Child Loop BB4_21 Depth 3
	s_and_not1_b32 vcc_lo, exec_lo, s23
	s_mov_b32 s38, -1
	s_cbranch_vccnz .LBB4_25
; %bb.18:                               ;   in Loop: Header=BB4_17 Depth=2
	s_lshl_b64 s[10:11], s[16:17], 3
	s_mov_b32 s41, 0
	s_mov_b32 s42, s12
                                        ; implicit-def: $sgpr40
                                        ; implicit-def: $sgpr39
                                        ; implicit-def: $sgpr43
                                        ; implicit-def: $sgpr44
	s_branch .LBB4_21
.LBB4_19:                               ;   in Loop: Header=BB4_21 Depth=3
	s_or_b32 exec_lo, exec_lo, s48
	v_mov_b32_e32 v13, 2
	s_and_not1_b32 s44, s44, exec_lo
	s_and_b32 s2, s2, exec_lo
	s_and_not1_b32 s43, s43, exec_lo
	s_and_b32 s47, s47, exec_lo
	s_or_b32 s44, s44, s2
	s_or_b32 s43, s43, s47
.LBB4_20:                               ;   in Loop: Header=BB4_21 Depth=3
	s_or_b32 exec_lo, exec_lo, s46
	s_xor_b32 s2, s44, -1
	s_and_b32 s46, exec_lo, s43
	s_delay_alu instid0(SALU_CYCLE_1)
	s_or_b32 s41, s46, s41
	s_and_not1_b32 s39, s39, exec_lo
	s_and_b32 s45, s45, exec_lo
	s_and_not1_b32 s40, s40, exec_lo
	s_and_b32 s2, s2, exec_lo
	s_or_b32 s39, s39, s45
	s_or_b32 s40, s40, s2
	s_and_not1_b32 exec_lo, exec_lo, s41
	s_cbranch_execz .LBB4_24
.LBB4_21:                               ;   Parent Loop BB4_9 Depth=1
                                        ;     Parent Loop BB4_17 Depth=2
                                        ; =>    This Inner Loop Header: Depth=3
	v_add_co_u32 v5, vcc_lo, v9, s10
	v_add_co_ci_u32_e32 v6, vcc_lo, s11, v10, vcc_lo
	v_mov_b32_e32 v13, 1
	s_mov_b32 s45, -1
	s_or_b32 s44, s44, exec_lo
	global_load_b64 v[5:6], v[5:6], off
	s_or_b32 s43, s43, exec_lo
	s_waitcnt vmcnt(0)
	v_cmp_neq_f32_e32 vcc_lo, 0x7f800000, v5
	v_cmp_neq_f32_e64 s2, 0x7f800000, v6
	s_delay_alu instid0(VALU_DEP_1) | instskip(NEXT) | instid1(SALU_CYCLE_1)
	s_and_b32 s2, vcc_lo, s2
	s_and_saveexec_b32 s46, s2
	s_delay_alu instid0(SALU_CYCLE_1)
	s_xor_b32 s46, exec_lo, s46
	s_cbranch_execz .LBB4_20
; %bb.22:                               ;   in Loop: Header=BB4_21 Depth=3
	v_cmp_o_f32_e32 vcc_lo, v5, v5
	v_cmp_o_f32_e64 s2, v6, v6
	s_mov_b32 s47, -1
	s_delay_alu instid0(VALU_DEP_1)
	s_and_b32 s49, vcc_lo, s2
	s_mov_b32 s2, -1
	s_and_saveexec_b32 s48, s49
	s_cbranch_execz .LBB4_19
; %bb.23:                               ;   in Loop: Header=BB4_21 Depth=3
	s_add_i32 s42, s42, -1
	s_add_u32 s10, s10, 8
	s_addc_u32 s11, s11, 0
	s_cmp_eq_u32 s42, 0
	s_cselect_b32 s47, -1, 0
	s_xor_b32 s2, exec_lo, -1
	s_or_not1_b32 s47, s47, exec_lo
	s_branch .LBB4_19
.LBB4_24:                               ;   in Loop: Header=BB4_17 Depth=2
	s_or_b32 exec_lo, exec_lo, s41
	s_branch .LBB4_26
.LBB4_25:                               ;   in Loop: Header=BB4_17 Depth=2
	s_mov_b32 s40, -1
                                        ; implicit-def: $sgpr39
                                        ; implicit-def: $vgpr13
.LBB4_26:                               ;   in Loop: Header=BB4_17 Depth=2
	s_and_not1_b32 s2, s37, exec_lo
	s_and_b32 s10, s39, exec_lo
	s_delay_alu instid0(SALU_CYCLE_1)
	s_or_b32 s37, s2, s10
	s_and_saveexec_b32 s2, s40
	s_cbranch_execz .LBB4_16
; %bb.27:                               ;   in Loop: Header=BB4_17 Depth=2
	s_add_i32 s36, s36, 1
	s_add_i32 s16, s16, s12
	s_cmp_eq_u32 s36, s13
                                        ; implicit-def: $vgpr13
	s_cselect_b32 s10, -1, 0
	s_and_not1_b32 s39, s39, exec_lo
	s_and_not1_b32 s37, s37, exec_lo
	s_or_not1_b32 s38, s10, exec_lo
	s_branch .LBB4_16
.LBB4_28:                               ;   in Loop: Header=BB4_9 Depth=1
	s_or_b32 exec_lo, exec_lo, s35
	s_branch .LBB4_46
.LBB4_29:                               ;   in Loop: Header=BB4_9 Depth=1
	s_mov_b32 s3, 0
	s_mov_b32 s33, -1
	s_and_b32 vcc_lo, exec_lo, s2
	s_cbranch_vccnz .LBB4_31
	s_branch .LBB4_46
.LBB4_30:                               ;   in Loop: Header=BB4_9 Depth=1
	s_mov_b32 s33, -1
	s_branch .LBB4_46
.LBB4_31:                               ;   in Loop: Header=BB4_9 Depth=1
	s_and_b32 vcc_lo, exec_lo, s23
	s_cbranch_vccz .LBB4_50
; %bb.32:                               ;   in Loop: Header=BB4_9 Depth=1
	s_mov_b32 s35, 0
	s_mov_b32 s36, 0
	;; [unrolled: 1-line block ×3, first 2 shown]
                                        ; implicit-def: $sgpr3
                                        ; implicit-def: $sgpr33
                                        ; implicit-def: $sgpr37
	s_branch .LBB4_34
.LBB4_33:                               ;   in Loop: Header=BB4_34 Depth=2
	s_or_b32 exec_lo, exec_lo, s2
	s_xor_b32 s2, s39, -1
	s_and_b32 s10, exec_lo, s38
	s_delay_alu instid0(SALU_CYCLE_1)
	s_or_b32 s35, s10, s35
	s_and_not1_b32 s10, s33, exec_lo
	s_and_b32 s11, s37, exec_lo
	s_and_not1_b32 s3, s3, exec_lo
	s_and_b32 s2, s2, exec_lo
	s_or_b32 s33, s10, s11
	s_or_b32 s3, s3, s2
	s_and_not1_b32 exec_lo, exec_lo, s35
	s_cbranch_execz .LBB4_45
.LBB4_34:                               ;   Parent Loop BB4_9 Depth=1
                                        ; =>  This Loop Header: Depth=2
                                        ;       Child Loop BB4_38 Depth 3
	s_and_not1_b32 vcc_lo, exec_lo, s22
	s_mov_b32 s38, -1
	s_cbranch_vccnz .LBB4_42
; %bb.35:                               ;   in Loop: Header=BB4_34 Depth=2
	s_lshl_b64 s[10:11], s[16:17], 3
	s_mov_b32 s41, 0
	s_mov_b32 s42, s13
                                        ; implicit-def: $sgpr40
                                        ; implicit-def: $sgpr39
                                        ; implicit-def: $sgpr43
                                        ; implicit-def: $sgpr44
	s_branch .LBB4_38
.LBB4_36:                               ;   in Loop: Header=BB4_38 Depth=3
	s_or_b32 exec_lo, exec_lo, s48
	v_mov_b32_e32 v13, 2
	s_and_not1_b32 s44, s44, exec_lo
	s_and_b32 s2, s2, exec_lo
	s_and_not1_b32 s43, s43, exec_lo
	s_and_b32 s47, s47, exec_lo
	s_or_b32 s44, s44, s2
	s_or_b32 s43, s43, s47
.LBB4_37:                               ;   in Loop: Header=BB4_38 Depth=3
	s_or_b32 exec_lo, exec_lo, s46
	s_xor_b32 s2, s44, -1
	s_and_b32 s46, exec_lo, s43
	s_delay_alu instid0(SALU_CYCLE_1)
	s_or_b32 s41, s46, s41
	s_and_not1_b32 s39, s39, exec_lo
	s_and_b32 s45, s45, exec_lo
	s_and_not1_b32 s40, s40, exec_lo
	s_and_b32 s2, s2, exec_lo
	s_or_b32 s39, s39, s45
	s_or_b32 s40, s40, s2
	s_and_not1_b32 exec_lo, exec_lo, s41
	s_cbranch_execz .LBB4_41
.LBB4_38:                               ;   Parent Loop BB4_9 Depth=1
                                        ;     Parent Loop BB4_34 Depth=2
                                        ; =>    This Inner Loop Header: Depth=3
	v_add_co_u32 v5, vcc_lo, v9, s10
	v_add_co_ci_u32_e32 v6, vcc_lo, s11, v10, vcc_lo
	v_mov_b32_e32 v13, 1
	s_mov_b32 s45, -1
	s_or_b32 s44, s44, exec_lo
	global_load_b64 v[5:6], v[5:6], off
	s_or_b32 s43, s43, exec_lo
	s_waitcnt vmcnt(0)
	v_cmp_neq_f32_e32 vcc_lo, 0x7f800000, v5
	v_cmp_neq_f32_e64 s2, 0x7f800000, v6
	s_delay_alu instid0(VALU_DEP_1) | instskip(NEXT) | instid1(SALU_CYCLE_1)
	s_and_b32 s2, vcc_lo, s2
	s_and_saveexec_b32 s46, s2
	s_delay_alu instid0(SALU_CYCLE_1)
	s_xor_b32 s46, exec_lo, s46
	s_cbranch_execz .LBB4_37
; %bb.39:                               ;   in Loop: Header=BB4_38 Depth=3
	v_cmp_o_f32_e32 vcc_lo, v5, v5
	v_cmp_o_f32_e64 s2, v6, v6
	s_mov_b32 s47, -1
	s_delay_alu instid0(VALU_DEP_1)
	s_and_b32 s49, vcc_lo, s2
	s_mov_b32 s2, -1
	s_and_saveexec_b32 s48, s49
	s_cbranch_execz .LBB4_36
; %bb.40:                               ;   in Loop: Header=BB4_38 Depth=3
	s_add_i32 s42, s42, -1
	s_add_u32 s10, s10, 8
	s_addc_u32 s11, s11, 0
	s_cmp_eq_u32 s42, 0
	s_cselect_b32 s47, -1, 0
	s_xor_b32 s2, exec_lo, -1
	s_or_not1_b32 s47, s47, exec_lo
	s_branch .LBB4_36
.LBB4_41:                               ;   in Loop: Header=BB4_34 Depth=2
	s_or_b32 exec_lo, exec_lo, s41
	s_branch .LBB4_43
.LBB4_42:                               ;   in Loop: Header=BB4_34 Depth=2
	s_mov_b32 s40, -1
                                        ; implicit-def: $sgpr39
                                        ; implicit-def: $vgpr13
.LBB4_43:                               ;   in Loop: Header=BB4_34 Depth=2
	s_and_not1_b32 s2, s37, exec_lo
	s_and_b32 s10, s39, exec_lo
	s_delay_alu instid0(SALU_CYCLE_1)
	s_or_b32 s37, s2, s10
	s_and_saveexec_b32 s2, s40
	s_cbranch_execz .LBB4_33
; %bb.44:                               ;   in Loop: Header=BB4_34 Depth=2
	s_add_i32 s36, s36, 1
	s_add_i32 s16, s16, s13
	s_cmp_eq_u32 s36, s12
                                        ; implicit-def: $vgpr13
	s_cselect_b32 s10, -1, 0
	s_and_not1_b32 s39, s39, exec_lo
	s_and_not1_b32 s37, s37, exec_lo
	s_or_not1_b32 s38, s10, exec_lo
	s_branch .LBB4_33
.LBB4_45:                               ;   in Loop: Header=BB4_9 Depth=1
	s_or_b32 exec_lo, exec_lo, s35
.LBB4_46:                               ;   in Loop: Header=BB4_9 Depth=1
	s_mov_b32 s2, -1
	s_and_saveexec_b32 s10, s3
	s_cbranch_execz .LBB4_6
.LBB4_47:                               ;   in Loop: Header=BB4_9 Depth=1
	s_and_b32 vcc_lo, exec_lo, s9
	s_cbranch_vccz .LBB4_51
; %bb.48:                               ;   in Loop: Header=BB4_9 Depth=1
	s_and_b32 vcc_lo, exec_lo, s24
	s_cbranch_vccz .LBB4_52
; %bb.49:                               ;   in Loop: Header=BB4_9 Depth=1
	v_cmp_le_i32_e32 vcc_lo, v0, v12
	v_mov_b32_e32 v13, 7
	s_or_b32 s11, s33, exec_lo
	s_and_b32 s3, vcc_lo, exec_lo
	s_cbranch_execz .LBB4_53
	s_branch .LBB4_54
.LBB4_50:                               ;   in Loop: Header=BB4_9 Depth=1
	s_mov_b32 s3, -1
	s_mov_b32 s2, -1
	s_and_saveexec_b32 s10, s3
	s_cbranch_execz .LBB4_6
	s_branch .LBB4_47
.LBB4_51:                               ;   in Loop: Header=BB4_9 Depth=1
	s_mov_b32 s3, -1
	s_mov_b32 s11, s33
	s_branch .LBB4_54
.LBB4_52:                               ;   in Loop: Header=BB4_9 Depth=1
	s_mov_b32 s3, 0
	s_mov_b32 s11, s33
.LBB4_53:                               ;   in Loop: Header=BB4_9 Depth=1
	v_cmp_ge_i32_e32 vcc_lo, v0, v12
	v_mov_b32_e32 v13, 7
	s_and_not1_b32 s3, s3, exec_lo
	s_or_b32 s11, s11, exec_lo
	s_and_b32 s16, vcc_lo, exec_lo
	s_delay_alu instid0(SALU_CYCLE_1)
	s_or_b32 s3, s3, s16
.LBB4_54:                               ;   in Loop: Header=BB4_9 Depth=1
	s_delay_alu instid0(SALU_CYCLE_1)
	s_and_saveexec_b32 s16, s3
	s_cbranch_execz .LBB4_5
; %bb.55:                               ;   in Loop: Header=BB4_9 Depth=1
	s_or_b32 s34, s25, s34
	s_mov_b32 s3, s11
	s_xor_b32 s2, s34, -1
	s_delay_alu instid0(SALU_CYCLE_1)
	s_and_saveexec_b32 s35, s2
	s_cbranch_execz .LBB4_57
; %bb.56:                               ;   in Loop: Header=BB4_9 Depth=1
	global_load_b32 v3, v[3:4], off offset:-4
	v_mov_b32_e32 v13, 6
	s_and_not1_b32 s34, s34, exec_lo
	s_waitcnt vmcnt(0)
	v_subrev_nc_u32_e32 v4, s8, v3
	v_cmp_gt_i32_e64 s3, v11, v3
	s_delay_alu instid0(VALU_DEP_2) | instskip(SKIP_1) | instid1(VALU_DEP_1)
	v_cmp_lt_i32_e32 vcc_lo, -1, v4
	v_cmp_gt_i32_e64 s2, s18, v4
	s_and_b32 s2, vcc_lo, s2
	s_delay_alu instid0(SALU_CYCLE_1) | instskip(NEXT) | instid1(SALU_CYCLE_1)
	s_xor_b32 s2, s2, -1
	s_or_b32 s2, s3, s2
	s_or_b32 s3, s11, exec_lo
	s_and_b32 s2, s2, exec_lo
	s_delay_alu instid0(SALU_CYCLE_1)
	s_or_b32 s34, s34, s2
.LBB4_57:                               ;   in Loop: Header=BB4_9 Depth=1
	s_or_b32 exec_lo, exec_lo, s35
	s_mov_b32 s2, -1
	s_and_saveexec_b32 s35, s34
	s_cbranch_execz .LBB4_4
; %bb.58:                               ;   in Loop: Header=BB4_9 Depth=1
	v_add_nc_u32_e32 v1, 1, v1
	v_add_co_u32 v9, s2, v9, s6
	s_delay_alu instid0(VALU_DEP_1) | instskip(NEXT) | instid1(VALU_DEP_3)
	v_add_co_ci_u32_e64 v10, s2, s7, v10, s2
	v_cmp_ge_i32_e32 vcc_lo, v1, v7
	s_and_not1_b32 s3, s3, exec_lo
                                        ; implicit-def: $vgpr13
	s_or_not1_b32 s2, vcc_lo, exec_lo
	s_branch .LBB4_4
.LBB4_59:
	s_or_b32 exec_lo, exec_lo, s15
	s_delay_alu instid0(SALU_CYCLE_1)
	s_and_b32 s2, s27, exec_lo
.LBB4_60:
	s_or_b32 exec_lo, exec_lo, s20
	s_delay_alu instid0(SALU_CYCLE_1)
	s_or_not1_b32 s4, s2, exec_lo
.LBB4_61:
	s_or_b32 exec_lo, exec_lo, s19
	s_delay_alu instid0(SALU_CYCLE_1)
	s_and_b32 exec_lo, exec_lo, s4
	s_cbranch_execz .LBB4_63
; %bb.62:
	s_load_b64 s[0:1], s[0:1], 0x48
	v_mov_b32_e32 v0, 0
	s_waitcnt lgkmcnt(0)
	global_store_b32 v0, v13, s[0:1]
.LBB4_63:
	s_nop 0
	s_sendmsg sendmsg(MSG_DEALLOC_VGPRS)
	s_endpgm
	.section	.rodata,"a",@progbits
	.p2align	6, 0x0
	.amdhsa_kernel _ZN9rocsparseL25check_matrix_gebsr_deviceILj256E21rocsparse_complex_numIfEiiEEv20rocsparse_direction_T2_S4_T1_S4_S4_PKT0_PKS5_PKS4_SC_21rocsparse_index_base_22rocsparse_matrix_type_20rocsparse_fill_mode_23rocsparse_storage_mode_P22rocsparse_data_status_
		.amdhsa_group_segment_fixed_size 0
		.amdhsa_private_segment_fixed_size 0
		.amdhsa_kernarg_size 80
		.amdhsa_user_sgpr_count 15
		.amdhsa_user_sgpr_dispatch_ptr 0
		.amdhsa_user_sgpr_queue_ptr 0
		.amdhsa_user_sgpr_kernarg_segment_ptr 1
		.amdhsa_user_sgpr_dispatch_id 0
		.amdhsa_user_sgpr_private_segment_size 0
		.amdhsa_wavefront_size32 1
		.amdhsa_uses_dynamic_stack 0
		.amdhsa_enable_private_segment 0
		.amdhsa_system_sgpr_workgroup_id_x 1
		.amdhsa_system_sgpr_workgroup_id_y 0
		.amdhsa_system_sgpr_workgroup_id_z 0
		.amdhsa_system_sgpr_workgroup_info 0
		.amdhsa_system_vgpr_workitem_id 0
		.amdhsa_next_free_vgpr 14
		.amdhsa_next_free_sgpr 50
		.amdhsa_reserve_vcc 1
		.amdhsa_float_round_mode_32 0
		.amdhsa_float_round_mode_16_64 0
		.amdhsa_float_denorm_mode_32 3
		.amdhsa_float_denorm_mode_16_64 3
		.amdhsa_dx10_clamp 1
		.amdhsa_ieee_mode 1
		.amdhsa_fp16_overflow 0
		.amdhsa_workgroup_processor_mode 1
		.amdhsa_memory_ordered 1
		.amdhsa_forward_progress 0
		.amdhsa_shared_vgpr_count 0
		.amdhsa_exception_fp_ieee_invalid_op 0
		.amdhsa_exception_fp_denorm_src 0
		.amdhsa_exception_fp_ieee_div_zero 0
		.amdhsa_exception_fp_ieee_overflow 0
		.amdhsa_exception_fp_ieee_underflow 0
		.amdhsa_exception_fp_ieee_inexact 0
		.amdhsa_exception_int_div_zero 0
	.end_amdhsa_kernel
	.section	.text._ZN9rocsparseL25check_matrix_gebsr_deviceILj256E21rocsparse_complex_numIfEiiEEv20rocsparse_direction_T2_S4_T1_S4_S4_PKT0_PKS5_PKS4_SC_21rocsparse_index_base_22rocsparse_matrix_type_20rocsparse_fill_mode_23rocsparse_storage_mode_P22rocsparse_data_status_,"axG",@progbits,_ZN9rocsparseL25check_matrix_gebsr_deviceILj256E21rocsparse_complex_numIfEiiEEv20rocsparse_direction_T2_S4_T1_S4_S4_PKT0_PKS5_PKS4_SC_21rocsparse_index_base_22rocsparse_matrix_type_20rocsparse_fill_mode_23rocsparse_storage_mode_P22rocsparse_data_status_,comdat
.Lfunc_end4:
	.size	_ZN9rocsparseL25check_matrix_gebsr_deviceILj256E21rocsparse_complex_numIfEiiEEv20rocsparse_direction_T2_S4_T1_S4_S4_PKT0_PKS5_PKS4_SC_21rocsparse_index_base_22rocsparse_matrix_type_20rocsparse_fill_mode_23rocsparse_storage_mode_P22rocsparse_data_status_, .Lfunc_end4-_ZN9rocsparseL25check_matrix_gebsr_deviceILj256E21rocsparse_complex_numIfEiiEEv20rocsparse_direction_T2_S4_T1_S4_S4_PKT0_PKS5_PKS4_SC_21rocsparse_index_base_22rocsparse_matrix_type_20rocsparse_fill_mode_23rocsparse_storage_mode_P22rocsparse_data_status_
                                        ; -- End function
	.section	.AMDGPU.csdata,"",@progbits
; Kernel info:
; codeLenInByte = 1956
; NumSgprs: 52
; NumVgprs: 14
; ScratchSize: 0
; MemoryBound: 0
; FloatMode: 240
; IeeeMode: 1
; LDSByteSize: 0 bytes/workgroup (compile time only)
; SGPRBlocks: 6
; VGPRBlocks: 1
; NumSGPRsForWavesPerEU: 52
; NumVGPRsForWavesPerEU: 14
; Occupancy: 16
; WaveLimiterHint : 0
; COMPUTE_PGM_RSRC2:SCRATCH_EN: 0
; COMPUTE_PGM_RSRC2:USER_SGPR: 15
; COMPUTE_PGM_RSRC2:TRAP_HANDLER: 0
; COMPUTE_PGM_RSRC2:TGID_X_EN: 1
; COMPUTE_PGM_RSRC2:TGID_Y_EN: 0
; COMPUTE_PGM_RSRC2:TGID_Z_EN: 0
; COMPUTE_PGM_RSRC2:TIDIG_COMP_CNT: 0
	.section	.text._ZN9rocsparseL25check_matrix_gebsr_deviceILj256E21rocsparse_complex_numIdEiiEEv20rocsparse_direction_T2_S4_T1_S4_S4_PKT0_PKS5_PKS4_SC_21rocsparse_index_base_22rocsparse_matrix_type_20rocsparse_fill_mode_23rocsparse_storage_mode_P22rocsparse_data_status_,"axG",@progbits,_ZN9rocsparseL25check_matrix_gebsr_deviceILj256E21rocsparse_complex_numIdEiiEEv20rocsparse_direction_T2_S4_T1_S4_S4_PKT0_PKS5_PKS4_SC_21rocsparse_index_base_22rocsparse_matrix_type_20rocsparse_fill_mode_23rocsparse_storage_mode_P22rocsparse_data_status_,comdat
	.globl	_ZN9rocsparseL25check_matrix_gebsr_deviceILj256E21rocsparse_complex_numIdEiiEEv20rocsparse_direction_T2_S4_T1_S4_S4_PKT0_PKS5_PKS4_SC_21rocsparse_index_base_22rocsparse_matrix_type_20rocsparse_fill_mode_23rocsparse_storage_mode_P22rocsparse_data_status_ ; -- Begin function _ZN9rocsparseL25check_matrix_gebsr_deviceILj256E21rocsparse_complex_numIdEiiEEv20rocsparse_direction_T2_S4_T1_S4_S4_PKT0_PKS5_PKS4_SC_21rocsparse_index_base_22rocsparse_matrix_type_20rocsparse_fill_mode_23rocsparse_storage_mode_P22rocsparse_data_status_
	.p2align	8
	.type	_ZN9rocsparseL25check_matrix_gebsr_deviceILj256E21rocsparse_complex_numIdEiiEEv20rocsparse_direction_T2_S4_T1_S4_S4_PKT0_PKS5_PKS4_SC_21rocsparse_index_base_22rocsparse_matrix_type_20rocsparse_fill_mode_23rocsparse_storage_mode_P22rocsparse_data_status_,@function
_ZN9rocsparseL25check_matrix_gebsr_deviceILj256E21rocsparse_complex_numIdEiiEEv20rocsparse_direction_T2_S4_T1_S4_S4_PKT0_PKS5_PKS4_SC_21rocsparse_index_base_22rocsparse_matrix_type_20rocsparse_fill_mode_23rocsparse_storage_mode_P22rocsparse_data_status_: ; @_ZN9rocsparseL25check_matrix_gebsr_deviceILj256E21rocsparse_complex_numIdEiiEEv20rocsparse_direction_T2_S4_T1_S4_S4_PKT0_PKS5_PKS4_SC_21rocsparse_index_base_22rocsparse_matrix_type_20rocsparse_fill_mode_23rocsparse_storage_mode_P22rocsparse_data_status_
; %bb.0:
	s_load_b128 s[16:19], s[0:1], 0x0
	v_lshl_or_b32 v4, s15, 8, v0
	s_mov_b32 s2, exec_lo
	s_waitcnt lgkmcnt(0)
	s_delay_alu instid0(VALU_DEP_1)
	v_cmpx_gt_i32_e64 s17, v4
	s_cbranch_execz .LBB5_63
; %bb.1:
	s_load_b64 s[2:3], s[0:1], 0x20
	v_ashrrev_i32_e32 v5, 31, v4
	v_mov_b32_e32 v15, 3
	s_mov_b32 s4, -1
	s_delay_alu instid0(VALU_DEP_2) | instskip(SKIP_1) | instid1(VALU_DEP_1)
	v_lshlrev_b64 v[0:1], 2, v[4:5]
	s_waitcnt lgkmcnt(0)
	v_add_co_u32 v0, vcc_lo, s2, v0
	s_delay_alu instid0(VALU_DEP_2)
	v_add_co_ci_u32_e32 v1, vcc_lo, s3, v1, vcc_lo
	s_load_b32 s2, s[2:3], 0x0
	global_load_b64 v[0:1], v[0:1], off
	s_waitcnt vmcnt(0) lgkmcnt(0)
	v_subrev_nc_u32_e32 v9, s2, v1
	v_subrev_nc_u32_e32 v10, s2, v0
	v_cmp_lt_i32_e64 s2, v1, v0
	s_delay_alu instid0(VALU_DEP_3) | instskip(NEXT) | instid1(VALU_DEP_3)
	v_cmp_gt_i32_e32 vcc_lo, 0, v9
	v_cmp_lt_i32_e64 s3, -1, v10
	s_delay_alu instid0(VALU_DEP_3) | instskip(NEXT) | instid1(SALU_CYCLE_1)
	s_or_b32 s2, vcc_lo, s2
	s_xor_b32 s5, s2, -1
	s_mov_b32 s2, 0
	s_delay_alu instid0(VALU_DEP_1) | instskip(NEXT) | instid1(SALU_CYCLE_1)
	s_and_b32 s3, s3, s5
	s_and_saveexec_b32 s19, s3
	s_cbranch_execz .LBB5_61
; %bb.2:
	v_mov_b32_e32 v15, 3
	s_mov_b32 s20, exec_lo
	v_cmpx_lt_i32_e64 v0, v1
	s_cbranch_execz .LBB5_60
; %bb.3:
	s_clause 0x1
	s_load_b128 s[12:15], s[0:1], 0x10
	s_load_b256 s[4:11], s[0:1], 0x28
	s_cmp_lg_u32 s16, 0
	v_mov_b32_e32 v5, v10
	s_cselect_b32 s21, -1, 0
	s_mov_b32 s17, 0
                                        ; implicit-def: $sgpr27
                                        ; implicit-def: $sgpr28
                                        ; implicit-def: $sgpr29
	s_waitcnt lgkmcnt(0)
	s_mul_i32 s2, s13, s12
	s_mul_hi_i32 s3, s13, s12
	v_mad_u64_u32 v[0:1], null, s2, v10, 0
	s_cmp_gt_i32 s13, 0
	s_cselect_b32 s22, -1, 0
	s_cmp_gt_i32 s12, 0
	s_cselect_b32 s23, -1, 0
	s_delay_alu instid0(VALU_DEP_1) | instskip(SKIP_4) | instid1(VALU_DEP_2)
	v_mad_u64_u32 v[2:3], null, s3, v10, v[1:2]
	v_mov_b32_e32 v6, 0
	s_cmp_lg_u32 s9, 0
	s_cselect_b32 s9, -1, 0
	s_cmp_lg_u32 s10, 0
	v_mov_b32_e32 v1, v2
	s_cselect_b32 s24, -1, 0
	s_cmp_lg_u32 s11, 0
	s_cselect_b32 s25, -1, 0
	s_delay_alu instid0(VALU_DEP_1) | instskip(SKIP_1) | instid1(VALU_DEP_1)
	v_lshlrev_b64 v[0:1], 4, v[0:1]
	s_add_u32 s26, s6, -4
	v_add_co_u32 v11, vcc_lo, s14, v0
	s_delay_alu instid0(VALU_DEP_2)
	v_add_co_ci_u32_e32 v12, vcc_lo, s15, v1, vcc_lo
	s_addc_u32 s14, s7, -1
	s_lshl_b64 s[6:7], s[2:3], 4
	s_mov_b32 s15, 0
	s_branch .LBB5_9
.LBB5_4:                                ;   in Loop: Header=BB5_9 Depth=1
	s_or_b32 exec_lo, exec_lo, s35
	s_delay_alu instid0(SALU_CYCLE_1)
	s_and_not1_b32 s11, s11, exec_lo
	s_and_b32 s3, s3, exec_lo
	s_or_not1_b32 s2, s2, exec_lo
	s_or_b32 s11, s11, s3
.LBB5_5:                                ;   in Loop: Header=BB5_9 Depth=1
	s_or_b32 exec_lo, exec_lo, s16
	s_delay_alu instid0(SALU_CYCLE_1)
	s_and_not1_b32 s3, s33, exec_lo
	s_and_b32 s11, s11, exec_lo
	s_or_not1_b32 s2, s2, exec_lo
	s_or_b32 s33, s3, s11
.LBB5_6:                                ;   in Loop: Header=BB5_9 Depth=1
	s_or_b32 exec_lo, exec_lo, s10
	s_delay_alu instid0(SALU_CYCLE_1)
	s_or_not1_b32 s3, s33, exec_lo
	s_or_not1_b32 s2, s2, exec_lo
.LBB5_7:                                ;   in Loop: Header=BB5_9 Depth=1
	s_or_b32 exec_lo, exec_lo, s31
	s_delay_alu instid0(SALU_CYCLE_1)
	s_and_not1_b32 s10, s29, exec_lo
	s_and_b32 s3, s3, exec_lo
	s_and_not1_b32 s11, s28, exec_lo
	s_and_b32 s2, s2, exec_lo
	s_or_b32 s29, s10, s3
	s_or_b32 s28, s11, s2
.LBB5_8:                                ;   in Loop: Header=BB5_9 Depth=1
	s_or_b32 exec_lo, exec_lo, s30
	s_delay_alu instid0(SALU_CYCLE_1) | instskip(NEXT) | instid1(SALU_CYCLE_1)
	s_and_b32 s2, exec_lo, s28
	s_or_b32 s15, s2, s15
	s_and_not1_b32 s2, s27, exec_lo
	s_and_b32 s3, s29, exec_lo
	s_delay_alu instid0(SALU_CYCLE_1)
	s_or_b32 s27, s2, s3
	s_and_not1_b32 exec_lo, exec_lo, s15
	s_cbranch_execz .LBB5_59
.LBB5_9:                                ; =>This Loop Header: Depth=1
                                        ;     Child Loop BB5_34 Depth 2
                                        ;       Child Loop BB5_38 Depth 3
                                        ;     Child Loop BB5_17 Depth 2
                                        ;       Child Loop BB5_21 Depth 3
	v_lshlrev_b64 v[0:1], 2, v[5:6]
	v_mov_b32_e32 v15, 4
	s_or_b32 s29, s29, exec_lo
	s_or_b32 s28, s28, exec_lo
	s_delay_alu instid0(VALU_DEP_2) | instskip(NEXT) | instid1(VALU_DEP_3)
	v_add_co_u32 v7, vcc_lo, s4, v0
	v_add_co_ci_u32_e32 v8, vcc_lo, s5, v1, vcc_lo
	global_load_b32 v13, v[7:8], off
	s_waitcnt vmcnt(0)
	v_subrev_nc_u32_e32 v14, s8, v13
	s_delay_alu instid0(VALU_DEP_1) | instskip(SKIP_1) | instid1(VALU_DEP_1)
	v_cmp_lt_i32_e32 vcc_lo, -1, v14
	v_cmp_gt_i32_e64 s2, s18, v14
	s_and_b32 s2, vcc_lo, s2
	s_delay_alu instid0(SALU_CYCLE_1)
	s_and_saveexec_b32 s30, s2
	s_cbranch_execz .LBB5_8
; %bb.10:                               ;   in Loop: Header=BB5_9 Depth=1
	v_cmp_le_i32_e64 s34, v5, v10
	v_mov_b32_e32 v15, 4
	s_mov_b32 s10, exec_lo
	s_delay_alu instid0(VALU_DEP_2)
	s_mov_b32 s11, s34
	v_cmpx_gt_i32_e64 v5, v10
	s_cbranch_execz .LBB5_12
; %bb.11:                               ;   in Loop: Header=BB5_9 Depth=1
	v_add_co_u32 v0, vcc_lo, s26, v0
	v_add_co_ci_u32_e32 v1, vcc_lo, s14, v1, vcc_lo
	v_mov_b32_e32 v15, 5
	global_load_b64 v[0:1], v[0:1], off
	s_waitcnt vmcnt(0)
	v_subrev_nc_u32_e32 v2, s8, v0
	v_cmp_ne_u32_e64 s3, v1, v0
	s_delay_alu instid0(VALU_DEP_2) | instskip(SKIP_1) | instid1(VALU_DEP_1)
	v_cmp_lt_i32_e32 vcc_lo, -1, v2
	v_cmp_gt_i32_e64 s2, s18, v2
	s_and_b32 s2, vcc_lo, s2
	s_delay_alu instid0(SALU_CYCLE_1) | instskip(NEXT) | instid1(SALU_CYCLE_1)
	s_xor_b32 s2, s2, -1
	s_or_b32 s2, s3, s2
	s_and_not1_b32 s3, s34, exec_lo
	s_and_b32 s2, s2, exec_lo
	s_delay_alu instid0(SALU_CYCLE_1)
	s_or_b32 s11, s3, s2
.LBB5_12:                               ;   in Loop: Header=BB5_9 Depth=1
	s_or_b32 exec_lo, exec_lo, s10
	s_mov_b32 s2, -1
	s_mov_b32 s3, -1
	s_and_saveexec_b32 s31, s11
	s_cbranch_execz .LBB5_7
; %bb.13:                               ;   in Loop: Header=BB5_9 Depth=1
	s_and_b32 vcc_lo, exec_lo, s21
	s_cbranch_vccz .LBB5_29
; %bb.14:                               ;   in Loop: Header=BB5_9 Depth=1
	s_and_b32 vcc_lo, exec_lo, s22
	s_cbranch_vccz .LBB5_30
; %bb.15:                               ;   in Loop: Header=BB5_9 Depth=1
	s_mov_b32 s35, 0
	s_mov_b32 s36, 0
	;; [unrolled: 1-line block ×3, first 2 shown]
                                        ; implicit-def: $sgpr3
                                        ; implicit-def: $sgpr33
                                        ; implicit-def: $sgpr37
	s_branch .LBB5_17
.LBB5_16:                               ;   in Loop: Header=BB5_17 Depth=2
	s_or_b32 exec_lo, exec_lo, s2
	s_xor_b32 s2, s39, -1
	s_and_b32 s10, exec_lo, s38
	s_delay_alu instid0(SALU_CYCLE_1)
	s_or_b32 s35, s10, s35
	s_and_not1_b32 s10, s33, exec_lo
	s_and_b32 s11, s37, exec_lo
	s_and_not1_b32 s3, s3, exec_lo
	s_and_b32 s2, s2, exec_lo
	s_or_b32 s33, s10, s11
	s_or_b32 s3, s3, s2
	s_and_not1_b32 exec_lo, exec_lo, s35
	s_cbranch_execz .LBB5_28
.LBB5_17:                               ;   Parent Loop BB5_9 Depth=1
                                        ; =>  This Loop Header: Depth=2
                                        ;       Child Loop BB5_21 Depth 3
	s_and_not1_b32 vcc_lo, exec_lo, s23
	s_mov_b32 s38, -1
	s_cbranch_vccnz .LBB5_25
; %bb.18:                               ;   in Loop: Header=BB5_17 Depth=2
	s_lshl_b64 s[10:11], s[16:17], 4
	s_mov_b32 s41, 0
	s_mov_b32 s42, s12
                                        ; implicit-def: $sgpr40
                                        ; implicit-def: $sgpr39
                                        ; implicit-def: $sgpr43
                                        ; implicit-def: $sgpr44
	s_branch .LBB5_21
.LBB5_19:                               ;   in Loop: Header=BB5_21 Depth=3
	s_or_b32 exec_lo, exec_lo, s48
	v_mov_b32_e32 v15, 2
	s_and_not1_b32 s44, s44, exec_lo
	s_and_b32 s2, s2, exec_lo
	s_and_not1_b32 s43, s43, exec_lo
	s_and_b32 s47, s47, exec_lo
	s_or_b32 s44, s44, s2
	s_or_b32 s43, s43, s47
.LBB5_20:                               ;   in Loop: Header=BB5_21 Depth=3
	s_or_b32 exec_lo, exec_lo, s46
	s_xor_b32 s2, s44, -1
	s_and_b32 s46, exec_lo, s43
	s_delay_alu instid0(SALU_CYCLE_1)
	s_or_b32 s41, s46, s41
	s_and_not1_b32 s39, s39, exec_lo
	s_and_b32 s45, s45, exec_lo
	s_and_not1_b32 s40, s40, exec_lo
	s_and_b32 s2, s2, exec_lo
	s_or_b32 s39, s39, s45
	s_or_b32 s40, s40, s2
	s_and_not1_b32 exec_lo, exec_lo, s41
	s_cbranch_execz .LBB5_24
.LBB5_21:                               ;   Parent Loop BB5_9 Depth=1
                                        ;     Parent Loop BB5_17 Depth=2
                                        ; =>    This Inner Loop Header: Depth=3
	v_add_co_u32 v0, vcc_lo, v11, s10
	v_add_co_ci_u32_e32 v1, vcc_lo, s11, v12, vcc_lo
	v_mov_b32_e32 v15, 1
	s_mov_b32 s45, -1
	s_or_b32 s44, s44, exec_lo
	global_load_b128 v[0:3], v[0:1], off
	s_or_b32 s43, s43, exec_lo
	s_waitcnt vmcnt(0)
	v_cmp_neq_f64_e32 vcc_lo, 0x7ff00000, v[0:1]
	v_cmp_neq_f64_e64 s2, 0x7ff00000, v[2:3]
	s_delay_alu instid0(VALU_DEP_1) | instskip(NEXT) | instid1(SALU_CYCLE_1)
	s_and_b32 s2, vcc_lo, s2
	s_and_saveexec_b32 s46, s2
	s_delay_alu instid0(SALU_CYCLE_1)
	s_xor_b32 s46, exec_lo, s46
	s_cbranch_execz .LBB5_20
; %bb.22:                               ;   in Loop: Header=BB5_21 Depth=3
	v_cmp_o_f64_e32 vcc_lo, v[0:1], v[0:1]
	v_cmp_o_f64_e64 s2, v[2:3], v[2:3]
	s_mov_b32 s47, -1
	s_delay_alu instid0(VALU_DEP_1)
	s_and_b32 s49, vcc_lo, s2
	s_mov_b32 s2, -1
	s_and_saveexec_b32 s48, s49
	s_cbranch_execz .LBB5_19
; %bb.23:                               ;   in Loop: Header=BB5_21 Depth=3
	s_add_i32 s42, s42, -1
	s_add_u32 s10, s10, 16
	s_addc_u32 s11, s11, 0
	s_cmp_eq_u32 s42, 0
	s_cselect_b32 s47, -1, 0
	s_xor_b32 s2, exec_lo, -1
	s_or_not1_b32 s47, s47, exec_lo
	s_branch .LBB5_19
.LBB5_24:                               ;   in Loop: Header=BB5_17 Depth=2
	s_or_b32 exec_lo, exec_lo, s41
	s_branch .LBB5_26
.LBB5_25:                               ;   in Loop: Header=BB5_17 Depth=2
	s_mov_b32 s40, -1
                                        ; implicit-def: $sgpr39
                                        ; implicit-def: $vgpr15
.LBB5_26:                               ;   in Loop: Header=BB5_17 Depth=2
	s_and_not1_b32 s2, s37, exec_lo
	s_and_b32 s10, s39, exec_lo
	s_delay_alu instid0(SALU_CYCLE_1)
	s_or_b32 s37, s2, s10
	s_and_saveexec_b32 s2, s40
	s_cbranch_execz .LBB5_16
; %bb.27:                               ;   in Loop: Header=BB5_17 Depth=2
	s_add_i32 s36, s36, 1
	s_add_i32 s16, s16, s12
	s_cmp_eq_u32 s36, s13
                                        ; implicit-def: $vgpr15
	s_cselect_b32 s10, -1, 0
	s_and_not1_b32 s39, s39, exec_lo
	s_and_not1_b32 s37, s37, exec_lo
	s_or_not1_b32 s38, s10, exec_lo
	s_branch .LBB5_16
.LBB5_28:                               ;   in Loop: Header=BB5_9 Depth=1
	s_or_b32 exec_lo, exec_lo, s35
	s_branch .LBB5_46
.LBB5_29:                               ;   in Loop: Header=BB5_9 Depth=1
	s_mov_b32 s3, 0
	s_mov_b32 s33, -1
	s_and_b32 vcc_lo, exec_lo, s2
	s_cbranch_vccnz .LBB5_31
	s_branch .LBB5_46
.LBB5_30:                               ;   in Loop: Header=BB5_9 Depth=1
	s_mov_b32 s33, -1
	s_branch .LBB5_46
.LBB5_31:                               ;   in Loop: Header=BB5_9 Depth=1
	s_and_b32 vcc_lo, exec_lo, s23
	s_cbranch_vccz .LBB5_50
; %bb.32:                               ;   in Loop: Header=BB5_9 Depth=1
	s_mov_b32 s35, 0
	s_mov_b32 s36, 0
	;; [unrolled: 1-line block ×3, first 2 shown]
                                        ; implicit-def: $sgpr3
                                        ; implicit-def: $sgpr33
                                        ; implicit-def: $sgpr37
	s_branch .LBB5_34
.LBB5_33:                               ;   in Loop: Header=BB5_34 Depth=2
	s_or_b32 exec_lo, exec_lo, s2
	s_xor_b32 s2, s39, -1
	s_and_b32 s10, exec_lo, s38
	s_delay_alu instid0(SALU_CYCLE_1)
	s_or_b32 s35, s10, s35
	s_and_not1_b32 s10, s33, exec_lo
	s_and_b32 s11, s37, exec_lo
	s_and_not1_b32 s3, s3, exec_lo
	s_and_b32 s2, s2, exec_lo
	s_or_b32 s33, s10, s11
	s_or_b32 s3, s3, s2
	s_and_not1_b32 exec_lo, exec_lo, s35
	s_cbranch_execz .LBB5_45
.LBB5_34:                               ;   Parent Loop BB5_9 Depth=1
                                        ; =>  This Loop Header: Depth=2
                                        ;       Child Loop BB5_38 Depth 3
	s_and_not1_b32 vcc_lo, exec_lo, s22
	s_mov_b32 s38, -1
	s_cbranch_vccnz .LBB5_42
; %bb.35:                               ;   in Loop: Header=BB5_34 Depth=2
	s_lshl_b64 s[10:11], s[16:17], 4
	s_mov_b32 s41, 0
	s_mov_b32 s42, s13
                                        ; implicit-def: $sgpr40
                                        ; implicit-def: $sgpr39
                                        ; implicit-def: $sgpr43
                                        ; implicit-def: $sgpr44
	s_branch .LBB5_38
.LBB5_36:                               ;   in Loop: Header=BB5_38 Depth=3
	s_or_b32 exec_lo, exec_lo, s48
	v_mov_b32_e32 v15, 2
	s_and_not1_b32 s44, s44, exec_lo
	s_and_b32 s2, s2, exec_lo
	s_and_not1_b32 s43, s43, exec_lo
	s_and_b32 s47, s47, exec_lo
	s_or_b32 s44, s44, s2
	s_or_b32 s43, s43, s47
.LBB5_37:                               ;   in Loop: Header=BB5_38 Depth=3
	s_or_b32 exec_lo, exec_lo, s46
	s_xor_b32 s2, s44, -1
	s_and_b32 s46, exec_lo, s43
	s_delay_alu instid0(SALU_CYCLE_1)
	s_or_b32 s41, s46, s41
	s_and_not1_b32 s39, s39, exec_lo
	s_and_b32 s45, s45, exec_lo
	s_and_not1_b32 s40, s40, exec_lo
	s_and_b32 s2, s2, exec_lo
	s_or_b32 s39, s39, s45
	s_or_b32 s40, s40, s2
	s_and_not1_b32 exec_lo, exec_lo, s41
	s_cbranch_execz .LBB5_41
.LBB5_38:                               ;   Parent Loop BB5_9 Depth=1
                                        ;     Parent Loop BB5_34 Depth=2
                                        ; =>    This Inner Loop Header: Depth=3
	v_add_co_u32 v0, vcc_lo, v11, s10
	v_add_co_ci_u32_e32 v1, vcc_lo, s11, v12, vcc_lo
	v_mov_b32_e32 v15, 1
	s_mov_b32 s45, -1
	s_or_b32 s44, s44, exec_lo
	global_load_b128 v[0:3], v[0:1], off
	s_or_b32 s43, s43, exec_lo
	s_waitcnt vmcnt(0)
	v_cmp_neq_f64_e32 vcc_lo, 0x7ff00000, v[0:1]
	v_cmp_neq_f64_e64 s2, 0x7ff00000, v[2:3]
	s_delay_alu instid0(VALU_DEP_1) | instskip(NEXT) | instid1(SALU_CYCLE_1)
	s_and_b32 s2, vcc_lo, s2
	s_and_saveexec_b32 s46, s2
	s_delay_alu instid0(SALU_CYCLE_1)
	s_xor_b32 s46, exec_lo, s46
	s_cbranch_execz .LBB5_37
; %bb.39:                               ;   in Loop: Header=BB5_38 Depth=3
	v_cmp_o_f64_e32 vcc_lo, v[0:1], v[0:1]
	v_cmp_o_f64_e64 s2, v[2:3], v[2:3]
	s_mov_b32 s47, -1
	s_delay_alu instid0(VALU_DEP_1)
	s_and_b32 s49, vcc_lo, s2
	s_mov_b32 s2, -1
	s_and_saveexec_b32 s48, s49
	s_cbranch_execz .LBB5_36
; %bb.40:                               ;   in Loop: Header=BB5_38 Depth=3
	s_add_i32 s42, s42, -1
	s_add_u32 s10, s10, 16
	s_addc_u32 s11, s11, 0
	s_cmp_eq_u32 s42, 0
	s_cselect_b32 s47, -1, 0
	s_xor_b32 s2, exec_lo, -1
	s_or_not1_b32 s47, s47, exec_lo
	s_branch .LBB5_36
.LBB5_41:                               ;   in Loop: Header=BB5_34 Depth=2
	s_or_b32 exec_lo, exec_lo, s41
	s_branch .LBB5_43
.LBB5_42:                               ;   in Loop: Header=BB5_34 Depth=2
	s_mov_b32 s40, -1
                                        ; implicit-def: $sgpr39
                                        ; implicit-def: $vgpr15
.LBB5_43:                               ;   in Loop: Header=BB5_34 Depth=2
	s_and_not1_b32 s2, s37, exec_lo
	s_and_b32 s10, s39, exec_lo
	s_delay_alu instid0(SALU_CYCLE_1)
	s_or_b32 s37, s2, s10
	s_and_saveexec_b32 s2, s40
	s_cbranch_execz .LBB5_33
; %bb.44:                               ;   in Loop: Header=BB5_34 Depth=2
	s_add_i32 s36, s36, 1
	s_add_i32 s16, s16, s13
	s_cmp_eq_u32 s36, s12
                                        ; implicit-def: $vgpr15
	s_cselect_b32 s10, -1, 0
	s_and_not1_b32 s39, s39, exec_lo
	s_and_not1_b32 s37, s37, exec_lo
	s_or_not1_b32 s38, s10, exec_lo
	s_branch .LBB5_33
.LBB5_45:                               ;   in Loop: Header=BB5_9 Depth=1
	s_or_b32 exec_lo, exec_lo, s35
.LBB5_46:                               ;   in Loop: Header=BB5_9 Depth=1
	s_mov_b32 s2, -1
	s_and_saveexec_b32 s10, s3
	s_cbranch_execz .LBB5_6
.LBB5_47:                               ;   in Loop: Header=BB5_9 Depth=1
	s_and_b32 vcc_lo, exec_lo, s9
	s_cbranch_vccz .LBB5_51
; %bb.48:                               ;   in Loop: Header=BB5_9 Depth=1
	s_and_b32 vcc_lo, exec_lo, s24
	s_cbranch_vccz .LBB5_52
; %bb.49:                               ;   in Loop: Header=BB5_9 Depth=1
	v_cmp_le_i32_e32 vcc_lo, v4, v14
	v_mov_b32_e32 v15, 7
	s_or_b32 s11, s33, exec_lo
	s_and_b32 s3, vcc_lo, exec_lo
	s_cbranch_execz .LBB5_53
	s_branch .LBB5_54
.LBB5_50:                               ;   in Loop: Header=BB5_9 Depth=1
	s_mov_b32 s3, -1
	s_mov_b32 s2, -1
	s_and_saveexec_b32 s10, s3
	s_cbranch_execz .LBB5_6
	s_branch .LBB5_47
.LBB5_51:                               ;   in Loop: Header=BB5_9 Depth=1
	s_mov_b32 s3, -1
	s_mov_b32 s11, s33
	s_branch .LBB5_54
.LBB5_52:                               ;   in Loop: Header=BB5_9 Depth=1
	s_mov_b32 s3, 0
	s_mov_b32 s11, s33
.LBB5_53:                               ;   in Loop: Header=BB5_9 Depth=1
	v_cmp_ge_i32_e32 vcc_lo, v4, v14
	v_mov_b32_e32 v15, 7
	s_and_not1_b32 s3, s3, exec_lo
	s_or_b32 s11, s11, exec_lo
	s_and_b32 s16, vcc_lo, exec_lo
	s_delay_alu instid0(SALU_CYCLE_1)
	s_or_b32 s3, s3, s16
.LBB5_54:                               ;   in Loop: Header=BB5_9 Depth=1
	s_delay_alu instid0(SALU_CYCLE_1)
	s_and_saveexec_b32 s16, s3
	s_cbranch_execz .LBB5_5
; %bb.55:                               ;   in Loop: Header=BB5_9 Depth=1
	s_or_b32 s34, s25, s34
	s_mov_b32 s3, s11
	s_xor_b32 s2, s34, -1
	s_delay_alu instid0(SALU_CYCLE_1)
	s_and_saveexec_b32 s35, s2
	s_cbranch_execz .LBB5_57
; %bb.56:                               ;   in Loop: Header=BB5_9 Depth=1
	global_load_b32 v0, v[7:8], off offset:-4
	v_mov_b32_e32 v15, 6
	s_and_not1_b32 s34, s34, exec_lo
	s_waitcnt vmcnt(0)
	v_subrev_nc_u32_e32 v1, s8, v0
	v_cmp_gt_i32_e64 s3, v13, v0
	s_delay_alu instid0(VALU_DEP_2) | instskip(SKIP_1) | instid1(VALU_DEP_1)
	v_cmp_lt_i32_e32 vcc_lo, -1, v1
	v_cmp_gt_i32_e64 s2, s18, v1
	s_and_b32 s2, vcc_lo, s2
	s_delay_alu instid0(SALU_CYCLE_1) | instskip(NEXT) | instid1(SALU_CYCLE_1)
	s_xor_b32 s2, s2, -1
	s_or_b32 s2, s3, s2
	s_or_b32 s3, s11, exec_lo
	s_and_b32 s2, s2, exec_lo
	s_delay_alu instid0(SALU_CYCLE_1)
	s_or_b32 s34, s34, s2
.LBB5_57:                               ;   in Loop: Header=BB5_9 Depth=1
	s_or_b32 exec_lo, exec_lo, s35
	s_mov_b32 s2, -1
	s_and_saveexec_b32 s35, s34
	s_cbranch_execz .LBB5_4
; %bb.58:                               ;   in Loop: Header=BB5_9 Depth=1
	v_add_nc_u32_e32 v5, 1, v5
	v_add_co_u32 v11, s2, v11, s6
	s_delay_alu instid0(VALU_DEP_1) | instskip(NEXT) | instid1(VALU_DEP_3)
	v_add_co_ci_u32_e64 v12, s2, s7, v12, s2
	v_cmp_ge_i32_e32 vcc_lo, v5, v9
	s_and_not1_b32 s3, s3, exec_lo
                                        ; implicit-def: $vgpr15
	s_or_not1_b32 s2, vcc_lo, exec_lo
	s_branch .LBB5_4
.LBB5_59:
	s_or_b32 exec_lo, exec_lo, s15
	s_delay_alu instid0(SALU_CYCLE_1)
	s_and_b32 s2, s27, exec_lo
.LBB5_60:
	s_or_b32 exec_lo, exec_lo, s20
	s_delay_alu instid0(SALU_CYCLE_1)
	s_or_not1_b32 s4, s2, exec_lo
.LBB5_61:
	s_or_b32 exec_lo, exec_lo, s19
	s_delay_alu instid0(SALU_CYCLE_1)
	s_and_b32 exec_lo, exec_lo, s4
	s_cbranch_execz .LBB5_63
; %bb.62:
	s_load_b64 s[0:1], s[0:1], 0x48
	v_mov_b32_e32 v0, 0
	s_waitcnt lgkmcnt(0)
	global_store_b32 v0, v15, s[0:1]
.LBB5_63:
	s_nop 0
	s_sendmsg sendmsg(MSG_DEALLOC_VGPRS)
	s_endpgm
	.section	.rodata,"a",@progbits
	.p2align	6, 0x0
	.amdhsa_kernel _ZN9rocsparseL25check_matrix_gebsr_deviceILj256E21rocsparse_complex_numIdEiiEEv20rocsparse_direction_T2_S4_T1_S4_S4_PKT0_PKS5_PKS4_SC_21rocsparse_index_base_22rocsparse_matrix_type_20rocsparse_fill_mode_23rocsparse_storage_mode_P22rocsparse_data_status_
		.amdhsa_group_segment_fixed_size 0
		.amdhsa_private_segment_fixed_size 0
		.amdhsa_kernarg_size 80
		.amdhsa_user_sgpr_count 15
		.amdhsa_user_sgpr_dispatch_ptr 0
		.amdhsa_user_sgpr_queue_ptr 0
		.amdhsa_user_sgpr_kernarg_segment_ptr 1
		.amdhsa_user_sgpr_dispatch_id 0
		.amdhsa_user_sgpr_private_segment_size 0
		.amdhsa_wavefront_size32 1
		.amdhsa_uses_dynamic_stack 0
		.amdhsa_enable_private_segment 0
		.amdhsa_system_sgpr_workgroup_id_x 1
		.amdhsa_system_sgpr_workgroup_id_y 0
		.amdhsa_system_sgpr_workgroup_id_z 0
		.amdhsa_system_sgpr_workgroup_info 0
		.amdhsa_system_vgpr_workitem_id 0
		.amdhsa_next_free_vgpr 16
		.amdhsa_next_free_sgpr 50
		.amdhsa_reserve_vcc 1
		.amdhsa_float_round_mode_32 0
		.amdhsa_float_round_mode_16_64 0
		.amdhsa_float_denorm_mode_32 3
		.amdhsa_float_denorm_mode_16_64 3
		.amdhsa_dx10_clamp 1
		.amdhsa_ieee_mode 1
		.amdhsa_fp16_overflow 0
		.amdhsa_workgroup_processor_mode 1
		.amdhsa_memory_ordered 1
		.amdhsa_forward_progress 0
		.amdhsa_shared_vgpr_count 0
		.amdhsa_exception_fp_ieee_invalid_op 0
		.amdhsa_exception_fp_denorm_src 0
		.amdhsa_exception_fp_ieee_div_zero 0
		.amdhsa_exception_fp_ieee_overflow 0
		.amdhsa_exception_fp_ieee_underflow 0
		.amdhsa_exception_fp_ieee_inexact 0
		.amdhsa_exception_int_div_zero 0
	.end_amdhsa_kernel
	.section	.text._ZN9rocsparseL25check_matrix_gebsr_deviceILj256E21rocsparse_complex_numIdEiiEEv20rocsparse_direction_T2_S4_T1_S4_S4_PKT0_PKS5_PKS4_SC_21rocsparse_index_base_22rocsparse_matrix_type_20rocsparse_fill_mode_23rocsparse_storage_mode_P22rocsparse_data_status_,"axG",@progbits,_ZN9rocsparseL25check_matrix_gebsr_deviceILj256E21rocsparse_complex_numIdEiiEEv20rocsparse_direction_T2_S4_T1_S4_S4_PKT0_PKS5_PKS4_SC_21rocsparse_index_base_22rocsparse_matrix_type_20rocsparse_fill_mode_23rocsparse_storage_mode_P22rocsparse_data_status_,comdat
.Lfunc_end5:
	.size	_ZN9rocsparseL25check_matrix_gebsr_deviceILj256E21rocsparse_complex_numIdEiiEEv20rocsparse_direction_T2_S4_T1_S4_S4_PKT0_PKS5_PKS4_SC_21rocsparse_index_base_22rocsparse_matrix_type_20rocsparse_fill_mode_23rocsparse_storage_mode_P22rocsparse_data_status_, .Lfunc_end5-_ZN9rocsparseL25check_matrix_gebsr_deviceILj256E21rocsparse_complex_numIdEiiEEv20rocsparse_direction_T2_S4_T1_S4_S4_PKT0_PKS5_PKS4_SC_21rocsparse_index_base_22rocsparse_matrix_type_20rocsparse_fill_mode_23rocsparse_storage_mode_P22rocsparse_data_status_
                                        ; -- End function
	.section	.AMDGPU.csdata,"",@progbits
; Kernel info:
; codeLenInByte = 1956
; NumSgprs: 52
; NumVgprs: 16
; ScratchSize: 0
; MemoryBound: 0
; FloatMode: 240
; IeeeMode: 1
; LDSByteSize: 0 bytes/workgroup (compile time only)
; SGPRBlocks: 6
; VGPRBlocks: 1
; NumSGPRsForWavesPerEU: 52
; NumVGPRsForWavesPerEU: 16
; Occupancy: 16
; WaveLimiterHint : 0
; COMPUTE_PGM_RSRC2:SCRATCH_EN: 0
; COMPUTE_PGM_RSRC2:USER_SGPR: 15
; COMPUTE_PGM_RSRC2:TRAP_HANDLER: 0
; COMPUTE_PGM_RSRC2:TGID_X_EN: 1
; COMPUTE_PGM_RSRC2:TGID_Y_EN: 0
; COMPUTE_PGM_RSRC2:TGID_Z_EN: 0
; COMPUTE_PGM_RSRC2:TIDIG_COMP_CNT: 0
	.section	.text._ZN9rocsparseL19check_row_ptr_arrayILj256EliEEvT1_PKT0_P22rocsparse_data_status_,"axG",@progbits,_ZN9rocsparseL19check_row_ptr_arrayILj256EliEEvT1_PKT0_P22rocsparse_data_status_,comdat
	.globl	_ZN9rocsparseL19check_row_ptr_arrayILj256EliEEvT1_PKT0_P22rocsparse_data_status_ ; -- Begin function _ZN9rocsparseL19check_row_ptr_arrayILj256EliEEvT1_PKT0_P22rocsparse_data_status_
	.p2align	8
	.type	_ZN9rocsparseL19check_row_ptr_arrayILj256EliEEvT1_PKT0_P22rocsparse_data_status_,@function
_ZN9rocsparseL19check_row_ptr_arrayILj256EliEEvT1_PKT0_P22rocsparse_data_status_: ; @_ZN9rocsparseL19check_row_ptr_arrayILj256EliEEvT1_PKT0_P22rocsparse_data_status_
; %bb.0:
	s_load_b32 s2, s[0:1], 0x0
	v_lshl_or_b32 v0, s15, 8, v0
	v_mov_b32_e32 v1, 0
	s_waitcnt lgkmcnt(0)
	s_ashr_i32 s3, s2, 31
	s_delay_alu instid0(VALU_DEP_1) | instid1(SALU_CYCLE_1)
	v_cmp_gt_i64_e32 vcc_lo, s[2:3], v[0:1]
	s_and_saveexec_b32 s2, vcc_lo
	s_cbranch_execz .LBB6_3
; %bb.1:
	s_load_b64 s[2:3], s[0:1], 0x8
	v_lshlrev_b64 v[0:1], 3, v[0:1]
	s_waitcnt lgkmcnt(0)
	s_delay_alu instid0(VALU_DEP_1) | instskip(NEXT) | instid1(VALU_DEP_2)
	v_add_co_u32 v0, vcc_lo, s2, v0
	v_add_co_ci_u32_e32 v1, vcc_lo, s3, v1, vcc_lo
	s_load_b64 s[4:5], s[2:3], 0x0
	global_load_b128 v[0:3], v[0:1], off
	s_waitcnt vmcnt(0) lgkmcnt(0)
	v_cmp_gt_i64_e32 vcc_lo, s[4:5], v[2:3]
	v_cmp_lt_i64_e64 s2, v[2:3], v[0:1]
	v_cmp_gt_i64_e64 s3, s[4:5], v[0:1]
	s_delay_alu instid0(VALU_DEP_2)
	s_or_b32 s2, vcc_lo, s2
	s_delay_alu instid0(VALU_DEP_1) | instid1(SALU_CYCLE_1)
	s_or_b32 s2, s3, s2
	s_delay_alu instid0(SALU_CYCLE_1)
	s_and_b32 exec_lo, exec_lo, s2
	s_cbranch_execz .LBB6_3
; %bb.2:
	s_load_b64 s[0:1], s[0:1], 0x10
	v_dual_mov_b32 v0, 0 :: v_dual_mov_b32 v1, 3
	s_waitcnt lgkmcnt(0)
	global_store_b32 v0, v1, s[0:1]
.LBB6_3:
	s_nop 0
	s_sendmsg sendmsg(MSG_DEALLOC_VGPRS)
	s_endpgm
	.section	.rodata,"a",@progbits
	.p2align	6, 0x0
	.amdhsa_kernel _ZN9rocsparseL19check_row_ptr_arrayILj256EliEEvT1_PKT0_P22rocsparse_data_status_
		.amdhsa_group_segment_fixed_size 0
		.amdhsa_private_segment_fixed_size 0
		.amdhsa_kernarg_size 24
		.amdhsa_user_sgpr_count 15
		.amdhsa_user_sgpr_dispatch_ptr 0
		.amdhsa_user_sgpr_queue_ptr 0
		.amdhsa_user_sgpr_kernarg_segment_ptr 1
		.amdhsa_user_sgpr_dispatch_id 0
		.amdhsa_user_sgpr_private_segment_size 0
		.amdhsa_wavefront_size32 1
		.amdhsa_uses_dynamic_stack 0
		.amdhsa_enable_private_segment 0
		.amdhsa_system_sgpr_workgroup_id_x 1
		.amdhsa_system_sgpr_workgroup_id_y 0
		.amdhsa_system_sgpr_workgroup_id_z 0
		.amdhsa_system_sgpr_workgroup_info 0
		.amdhsa_system_vgpr_workitem_id 0
		.amdhsa_next_free_vgpr 4
		.amdhsa_next_free_sgpr 16
		.amdhsa_reserve_vcc 1
		.amdhsa_float_round_mode_32 0
		.amdhsa_float_round_mode_16_64 0
		.amdhsa_float_denorm_mode_32 3
		.amdhsa_float_denorm_mode_16_64 3
		.amdhsa_dx10_clamp 1
		.amdhsa_ieee_mode 1
		.amdhsa_fp16_overflow 0
		.amdhsa_workgroup_processor_mode 1
		.amdhsa_memory_ordered 1
		.amdhsa_forward_progress 0
		.amdhsa_shared_vgpr_count 0
		.amdhsa_exception_fp_ieee_invalid_op 0
		.amdhsa_exception_fp_denorm_src 0
		.amdhsa_exception_fp_ieee_div_zero 0
		.amdhsa_exception_fp_ieee_overflow 0
		.amdhsa_exception_fp_ieee_underflow 0
		.amdhsa_exception_fp_ieee_inexact 0
		.amdhsa_exception_int_div_zero 0
	.end_amdhsa_kernel
	.section	.text._ZN9rocsparseL19check_row_ptr_arrayILj256EliEEvT1_PKT0_P22rocsparse_data_status_,"axG",@progbits,_ZN9rocsparseL19check_row_ptr_arrayILj256EliEEvT1_PKT0_P22rocsparse_data_status_,comdat
.Lfunc_end6:
	.size	_ZN9rocsparseL19check_row_ptr_arrayILj256EliEEvT1_PKT0_P22rocsparse_data_status_, .Lfunc_end6-_ZN9rocsparseL19check_row_ptr_arrayILj256EliEEvT1_PKT0_P22rocsparse_data_status_
                                        ; -- End function
	.section	.AMDGPU.csdata,"",@progbits
; Kernel info:
; codeLenInByte = 188
; NumSgprs: 18
; NumVgprs: 4
; ScratchSize: 0
; MemoryBound: 0
; FloatMode: 240
; IeeeMode: 1
; LDSByteSize: 0 bytes/workgroup (compile time only)
; SGPRBlocks: 2
; VGPRBlocks: 0
; NumSGPRsForWavesPerEU: 18
; NumVGPRsForWavesPerEU: 4
; Occupancy: 16
; WaveLimiterHint : 0
; COMPUTE_PGM_RSRC2:SCRATCH_EN: 0
; COMPUTE_PGM_RSRC2:USER_SGPR: 15
; COMPUTE_PGM_RSRC2:TRAP_HANDLER: 0
; COMPUTE_PGM_RSRC2:TGID_X_EN: 1
; COMPUTE_PGM_RSRC2:TGID_Y_EN: 0
; COMPUTE_PGM_RSRC2:TGID_Z_EN: 0
; COMPUTE_PGM_RSRC2:TIDIG_COMP_CNT: 0
	.section	.text._ZN9rocsparseL20shift_offsets_kernelILj512EliEEvT1_PKT0_PS2_,"axG",@progbits,_ZN9rocsparseL20shift_offsets_kernelILj512EliEEvT1_PKT0_PS2_,comdat
	.globl	_ZN9rocsparseL20shift_offsets_kernelILj512EliEEvT1_PKT0_PS2_ ; -- Begin function _ZN9rocsparseL20shift_offsets_kernelILj512EliEEvT1_PKT0_PS2_
	.p2align	8
	.type	_ZN9rocsparseL20shift_offsets_kernelILj512EliEEvT1_PKT0_PS2_,@function
_ZN9rocsparseL20shift_offsets_kernelILj512EliEEvT1_PKT0_PS2_: ; @_ZN9rocsparseL20shift_offsets_kernelILj512EliEEvT1_PKT0_PS2_
; %bb.0:
	s_load_b32 s2, s[0:1], 0x0
	v_lshl_or_b32 v0, s15, 9, v0
	s_waitcnt lgkmcnt(0)
	s_delay_alu instid0(VALU_DEP_1)
	v_cmp_gt_i32_e32 vcc_lo, s2, v0
	s_and_saveexec_b32 s2, vcc_lo
	s_cbranch_execz .LBB7_2
; %bb.1:
	s_load_b128 s[0:3], s[0:1], 0x8
	v_ashrrev_i32_e32 v1, 31, v0
	s_delay_alu instid0(VALU_DEP_1) | instskip(SKIP_1) | instid1(VALU_DEP_1)
	v_lshlrev_b64 v[0:1], 3, v[0:1]
	s_waitcnt lgkmcnt(0)
	v_add_co_u32 v2, vcc_lo, s0, v0
	s_delay_alu instid0(VALU_DEP_2)
	v_add_co_ci_u32_e32 v3, vcc_lo, s1, v1, vcc_lo
	v_add_co_u32 v0, vcc_lo, s2, v0
	v_add_co_ci_u32_e32 v1, vcc_lo, s3, v1, vcc_lo
	global_load_b64 v[2:3], v[2:3], off
	s_load_b64 s[0:1], s[0:1], 0x0
	s_waitcnt vmcnt(0) lgkmcnt(0)
	v_sub_co_u32 v2, vcc_lo, v2, s0
	v_subrev_co_ci_u32_e32 v3, vcc_lo, s1, v3, vcc_lo
	global_store_b64 v[0:1], v[2:3], off
.LBB7_2:
	s_nop 0
	s_sendmsg sendmsg(MSG_DEALLOC_VGPRS)
	s_endpgm
	.section	.rodata,"a",@progbits
	.p2align	6, 0x0
	.amdhsa_kernel _ZN9rocsparseL20shift_offsets_kernelILj512EliEEvT1_PKT0_PS2_
		.amdhsa_group_segment_fixed_size 0
		.amdhsa_private_segment_fixed_size 0
		.amdhsa_kernarg_size 24
		.amdhsa_user_sgpr_count 15
		.amdhsa_user_sgpr_dispatch_ptr 0
		.amdhsa_user_sgpr_queue_ptr 0
		.amdhsa_user_sgpr_kernarg_segment_ptr 1
		.amdhsa_user_sgpr_dispatch_id 0
		.amdhsa_user_sgpr_private_segment_size 0
		.amdhsa_wavefront_size32 1
		.amdhsa_uses_dynamic_stack 0
		.amdhsa_enable_private_segment 0
		.amdhsa_system_sgpr_workgroup_id_x 1
		.amdhsa_system_sgpr_workgroup_id_y 0
		.amdhsa_system_sgpr_workgroup_id_z 0
		.amdhsa_system_sgpr_workgroup_info 0
		.amdhsa_system_vgpr_workitem_id 0
		.amdhsa_next_free_vgpr 4
		.amdhsa_next_free_sgpr 16
		.amdhsa_reserve_vcc 1
		.amdhsa_float_round_mode_32 0
		.amdhsa_float_round_mode_16_64 0
		.amdhsa_float_denorm_mode_32 3
		.amdhsa_float_denorm_mode_16_64 3
		.amdhsa_dx10_clamp 1
		.amdhsa_ieee_mode 1
		.amdhsa_fp16_overflow 0
		.amdhsa_workgroup_processor_mode 1
		.amdhsa_memory_ordered 1
		.amdhsa_forward_progress 0
		.amdhsa_shared_vgpr_count 0
		.amdhsa_exception_fp_ieee_invalid_op 0
		.amdhsa_exception_fp_denorm_src 0
		.amdhsa_exception_fp_ieee_div_zero 0
		.amdhsa_exception_fp_ieee_overflow 0
		.amdhsa_exception_fp_ieee_underflow 0
		.amdhsa_exception_fp_ieee_inexact 0
		.amdhsa_exception_int_div_zero 0
	.end_amdhsa_kernel
	.section	.text._ZN9rocsparseL20shift_offsets_kernelILj512EliEEvT1_PKT0_PS2_,"axG",@progbits,_ZN9rocsparseL20shift_offsets_kernelILj512EliEEvT1_PKT0_PS2_,comdat
.Lfunc_end7:
	.size	_ZN9rocsparseL20shift_offsets_kernelILj512EliEEvT1_PKT0_PS2_, .Lfunc_end7-_ZN9rocsparseL20shift_offsets_kernelILj512EliEEvT1_PKT0_PS2_
                                        ; -- End function
	.section	.AMDGPU.csdata,"",@progbits
; Kernel info:
; codeLenInByte = 144
; NumSgprs: 18
; NumVgprs: 4
; ScratchSize: 0
; MemoryBound: 0
; FloatMode: 240
; IeeeMode: 1
; LDSByteSize: 0 bytes/workgroup (compile time only)
; SGPRBlocks: 2
; VGPRBlocks: 0
; NumSGPRsForWavesPerEU: 18
; NumVGPRsForWavesPerEU: 4
; Occupancy: 16
; WaveLimiterHint : 0
; COMPUTE_PGM_RSRC2:SCRATCH_EN: 0
; COMPUTE_PGM_RSRC2:USER_SGPR: 15
; COMPUTE_PGM_RSRC2:TRAP_HANDLER: 0
; COMPUTE_PGM_RSRC2:TGID_X_EN: 1
; COMPUTE_PGM_RSRC2:TGID_Y_EN: 0
; COMPUTE_PGM_RSRC2:TGID_Z_EN: 0
; COMPUTE_PGM_RSRC2:TIDIG_COMP_CNT: 0
	.section	.text._ZN9rocsparseL25check_matrix_gebsr_deviceILj256EfliEEv20rocsparse_direction_T2_S2_T1_S2_S2_PKT0_PKS3_PKS2_SA_21rocsparse_index_base_22rocsparse_matrix_type_20rocsparse_fill_mode_23rocsparse_storage_mode_P22rocsparse_data_status_,"axG",@progbits,_ZN9rocsparseL25check_matrix_gebsr_deviceILj256EfliEEv20rocsparse_direction_T2_S2_T1_S2_S2_PKT0_PKS3_PKS2_SA_21rocsparse_index_base_22rocsparse_matrix_type_20rocsparse_fill_mode_23rocsparse_storage_mode_P22rocsparse_data_status_,comdat
	.globl	_ZN9rocsparseL25check_matrix_gebsr_deviceILj256EfliEEv20rocsparse_direction_T2_S2_T1_S2_S2_PKT0_PKS3_PKS2_SA_21rocsparse_index_base_22rocsparse_matrix_type_20rocsparse_fill_mode_23rocsparse_storage_mode_P22rocsparse_data_status_ ; -- Begin function _ZN9rocsparseL25check_matrix_gebsr_deviceILj256EfliEEv20rocsparse_direction_T2_S2_T1_S2_S2_PKT0_PKS3_PKS2_SA_21rocsparse_index_base_22rocsparse_matrix_type_20rocsparse_fill_mode_23rocsparse_storage_mode_P22rocsparse_data_status_
	.p2align	8
	.type	_ZN9rocsparseL25check_matrix_gebsr_deviceILj256EfliEEv20rocsparse_direction_T2_S2_T1_S2_S2_PKT0_PKS3_PKS2_SA_21rocsparse_index_base_22rocsparse_matrix_type_20rocsparse_fill_mode_23rocsparse_storage_mode_P22rocsparse_data_status_,@function
_ZN9rocsparseL25check_matrix_gebsr_deviceILj256EfliEEv20rocsparse_direction_T2_S2_T1_S2_S2_PKT0_PKS3_PKS2_SA_21rocsparse_index_base_22rocsparse_matrix_type_20rocsparse_fill_mode_23rocsparse_storage_mode_P22rocsparse_data_status_: ; @_ZN9rocsparseL25check_matrix_gebsr_deviceILj256EfliEEv20rocsparse_direction_T2_S2_T1_S2_S2_PKT0_PKS3_PKS2_SA_21rocsparse_index_base_22rocsparse_matrix_type_20rocsparse_fill_mode_23rocsparse_storage_mode_P22rocsparse_data_status_
; %bb.0:
	s_load_b128 s[16:19], s[0:1], 0x0
	v_mov_b32_e32 v5, 0
	v_lshl_or_b32 v4, s15, 8, v0
	s_waitcnt lgkmcnt(0)
	s_ashr_i32 s3, s17, 31
	s_mov_b32 s2, s17
	s_delay_alu instid0(VALU_DEP_1) | instid1(SALU_CYCLE_1)
	v_cmp_gt_i64_e32 vcc_lo, s[2:3], v[4:5]
	s_and_saveexec_b32 s2, vcc_lo
	s_cbranch_execz .LBB8_63
; %bb.1:
	s_load_b64 s[2:3], s[0:1], 0x28
	v_lshlrev_b64 v[0:1], 3, v[4:5]
	v_mov_b32_e32 v15, 3
	s_waitcnt lgkmcnt(0)
	s_delay_alu instid0(VALU_DEP_2) | instskip(NEXT) | instid1(VALU_DEP_3)
	v_add_co_u32 v0, vcc_lo, s2, v0
	v_add_co_ci_u32_e32 v1, vcc_lo, s3, v1, vcc_lo
	s_load_b64 s[2:3], s[2:3], 0x0
	global_load_b128 v[0:3], v[0:1], off
	s_waitcnt vmcnt(0) lgkmcnt(0)
	v_sub_co_u32 v5, vcc_lo, v2, s2
	v_subrev_co_ci_u32_e32 v6, vcc_lo, s3, v3, vcc_lo
	v_sub_co_u32 v7, vcc_lo, v0, s2
	v_subrev_co_ci_u32_e32 v8, vcc_lo, s3, v1, vcc_lo
	s_delay_alu instid0(VALU_DEP_3) | instskip(SKIP_1) | instid1(VALU_DEP_3)
	v_cmp_gt_i64_e32 vcc_lo, 0, v[5:6]
	v_cmp_lt_i64_e64 s2, v[2:3], v[0:1]
	v_cmp_lt_i64_e64 s3, -1, v[7:8]
	s_delay_alu instid0(VALU_DEP_2) | instskip(NEXT) | instid1(SALU_CYCLE_1)
	s_or_b32 s2, vcc_lo, s2
	s_xor_b32 s4, s2, -1
	s_mov_b32 s2, -1
	s_delay_alu instid0(VALU_DEP_1) | instskip(NEXT) | instid1(SALU_CYCLE_1)
	s_and_b32 s3, s3, s4
	s_and_saveexec_b32 s19, s3
	s_cbranch_execz .LBB8_61
; %bb.2:
	v_mov_b32_e32 v15, 3
	s_mov_b32 s2, 0
	s_mov_b32 s20, exec_lo
	v_cmpx_lt_i64_e64 v[0:1], v[2:3]
	s_cbranch_execz .LBB8_60
; %bb.3:
	s_clause 0x1
	s_load_b128 s[12:15], s[0:1], 0x18
	s_load_b256 s[4:11], s[0:1], 0x30
	s_cmp_lg_u32 s16, 0
	s_mov_b32 s17, 0
	s_cselect_b32 s21, -1, 0
                                        ; implicit-def: $sgpr25
                                        ; implicit-def: $sgpr26
                                        ; implicit-def: $sgpr27
	s_waitcnt lgkmcnt(0)
	s_mul_hi_i32 s3, s13, s12
	s_mul_i32 s2, s13, s12
	v_mul_lo_u32 v2, s3, v7
	v_mul_lo_u32 v3, s2, v8
	v_mad_u64_u32 v[0:1], null, s2, v7, 0
	s_cmp_gt_i32 s13, 0
	s_cselect_b32 s22, -1, 0
	s_cmp_gt_i32 s12, 0
	s_cselect_b32 s23, -1, 0
	s_delay_alu instid0(VALU_DEP_1) | instskip(SKIP_3) | instid1(VALU_DEP_1)
	v_add3_u32 v1, v1, v3, v2
	s_cmp_lg_u32 s9, 0
	s_cselect_b32 s9, -1, 0
	s_cmp_lg_u32 s10, 0
	v_lshlrev_b64 v[0:1], 2, v[0:1]
	s_cselect_b32 s10, -1, 0
	s_cmp_lg_u32 s11, 0
	s_cselect_b32 s11, -1, 0
	s_add_u32 s24, s6, -4
	s_delay_alu instid0(VALU_DEP_1)
	v_add_co_u32 v11, vcc_lo, s14, v0
	v_add_co_ci_u32_e32 v12, vcc_lo, s15, v1, vcc_lo
	v_dual_mov_b32 v0, v7 :: v_dual_mov_b32 v1, v8
	s_addc_u32 s14, s7, -1
	s_lshl_b64 s[6:7], s[2:3], 2
	s_mov_b32 s15, 0
	s_branch .LBB8_9
.LBB8_4:                                ;   in Loop: Header=BB8_9 Depth=1
	s_or_b32 exec_lo, exec_lo, s35
	s_delay_alu instid0(SALU_CYCLE_1)
	s_and_not1_b32 s31, s33, exec_lo
	s_and_b32 s3, s3, exec_lo
	s_or_not1_b32 s2, s2, exec_lo
	s_or_b32 s33, s31, s3
.LBB8_5:                                ;   in Loop: Header=BB8_9 Depth=1
	s_or_b32 exec_lo, exec_lo, s34
	s_delay_alu instid0(SALU_CYCLE_1) | instskip(SKIP_1) | instid1(SALU_CYCLE_1)
	s_and_not1_b32 s3, s30, exec_lo
	s_and_b32 s30, s33, exec_lo
	s_or_b32 s30, s3, s30
	s_or_not1_b32 s3, s2, exec_lo
.LBB8_6:                                ;   in Loop: Header=BB8_9 Depth=1
	s_or_b32 exec_lo, exec_lo, s16
	s_delay_alu instid0(SALU_CYCLE_1)
	s_or_not1_b32 s16, s30, exec_lo
	s_or_not1_b32 s2, s3, exec_lo
.LBB8_7:                                ;   in Loop: Header=BB8_9 Depth=1
	s_or_b32 exec_lo, exec_lo, s29
	s_delay_alu instid0(SALU_CYCLE_1)
	s_and_not1_b32 s3, s27, exec_lo
	s_and_b32 s16, s16, exec_lo
	s_and_not1_b32 s26, s26, exec_lo
	s_and_b32 s2, s2, exec_lo
	s_or_b32 s27, s3, s16
	s_or_b32 s26, s26, s2
.LBB8_8:                                ;   in Loop: Header=BB8_9 Depth=1
	s_or_b32 exec_lo, exec_lo, s28
	s_delay_alu instid0(SALU_CYCLE_1) | instskip(NEXT) | instid1(SALU_CYCLE_1)
	s_and_b32 s2, exec_lo, s26
	s_or_b32 s15, s2, s15
	s_and_not1_b32 s2, s25, exec_lo
	s_and_b32 s3, s27, exec_lo
	s_delay_alu instid0(SALU_CYCLE_1)
	s_or_b32 s25, s2, s3
	s_and_not1_b32 exec_lo, exec_lo, s15
	s_cbranch_execz .LBB8_59
.LBB8_9:                                ; =>This Loop Header: Depth=1
                                        ;     Child Loop BB8_34 Depth 2
                                        ;       Child Loop BB8_38 Depth 3
                                        ;     Child Loop BB8_17 Depth 2
                                        ;       Child Loop BB8_21 Depth 3
	v_lshlrev_b64 v[9:10], 2, v[0:1]
	v_mov_b32_e32 v15, 4
	s_or_b32 s27, s27, exec_lo
	s_or_b32 s26, s26, exec_lo
	s_delay_alu instid0(VALU_DEP_2) | instskip(NEXT) | instid1(VALU_DEP_3)
	v_add_co_u32 v2, vcc_lo, s4, v9
	v_add_co_ci_u32_e32 v3, vcc_lo, s5, v10, vcc_lo
	global_load_b32 v13, v[2:3], off
	s_waitcnt vmcnt(0)
	v_subrev_nc_u32_e32 v14, s8, v13
	s_delay_alu instid0(VALU_DEP_1) | instskip(SKIP_1) | instid1(VALU_DEP_1)
	v_cmp_lt_i32_e32 vcc_lo, -1, v14
	v_cmp_gt_i32_e64 s2, s18, v14
	s_and_b32 s2, vcc_lo, s2
	s_delay_alu instid0(SALU_CYCLE_1)
	s_and_saveexec_b32 s28, s2
	s_cbranch_execz .LBB8_8
; %bb.10:                               ;   in Loop: Header=BB8_9 Depth=1
	v_cmp_le_i64_e64 s31, v[0:1], v[7:8]
	v_mov_b32_e32 v15, 4
	s_mov_b32 s16, exec_lo
	s_delay_alu instid0(VALU_DEP_2)
	s_mov_b32 s3, s31
	v_cmpx_gt_i64_e64 v[0:1], v[7:8]
	s_cbranch_execz .LBB8_12
; %bb.11:                               ;   in Loop: Header=BB8_9 Depth=1
	v_add_co_u32 v9, vcc_lo, s24, v9
	v_add_co_ci_u32_e32 v10, vcc_lo, s14, v10, vcc_lo
	global_load_b64 v[9:10], v[9:10], off
	s_waitcnt vmcnt(0)
	v_subrev_nc_u32_e32 v15, s8, v9
	v_cmp_ne_u32_e64 s3, v10, v9
	s_delay_alu instid0(VALU_DEP_2) | instskip(SKIP_2) | instid1(VALU_DEP_2)
	v_cmp_lt_i32_e32 vcc_lo, -1, v15
	v_cmp_gt_i32_e64 s2, s18, v15
	v_mov_b32_e32 v15, 5
	s_and_b32 s2, vcc_lo, s2
	s_delay_alu instid0(SALU_CYCLE_1) | instskip(NEXT) | instid1(SALU_CYCLE_1)
	s_xor_b32 s2, s2, -1
	s_or_b32 s2, s3, s2
	s_and_not1_b32 s3, s31, exec_lo
	s_and_b32 s2, s2, exec_lo
	s_delay_alu instid0(SALU_CYCLE_1)
	s_or_b32 s3, s3, s2
.LBB8_12:                               ;   in Loop: Header=BB8_9 Depth=1
	s_or_b32 exec_lo, exec_lo, s16
	s_mov_b32 s2, -1
	s_mov_b32 s16, -1
	s_and_saveexec_b32 s29, s3
	s_cbranch_execz .LBB8_7
; %bb.13:                               ;   in Loop: Header=BB8_9 Depth=1
	s_and_b32 vcc_lo, exec_lo, s21
	s_cbranch_vccz .LBB8_29
; %bb.14:                               ;   in Loop: Header=BB8_9 Depth=1
	s_and_b32 vcc_lo, exec_lo, s22
	s_cbranch_vccz .LBB8_30
; %bb.15:                               ;   in Loop: Header=BB8_9 Depth=1
	s_mov_b32 s3, 0
	s_mov_b32 s33, 0
	;; [unrolled: 1-line block ×3, first 2 shown]
                                        ; implicit-def: $sgpr2
                                        ; implicit-def: $sgpr30
                                        ; implicit-def: $sgpr34
	s_branch .LBB8_17
.LBB8_16:                               ;   in Loop: Header=BB8_17 Depth=2
	s_or_b32 exec_lo, exec_lo, s38
	s_xor_b32 s36, s36, -1
	s_and_b32 s35, exec_lo, s35
	s_delay_alu instid0(SALU_CYCLE_1)
	s_or_b32 s3, s35, s3
	s_and_not1_b32 s30, s30, exec_lo
	s_and_b32 s35, s34, exec_lo
	s_and_not1_b32 s2, s2, exec_lo
	s_and_b32 s36, s36, exec_lo
	s_or_b32 s30, s30, s35
	s_or_b32 s2, s2, s36
	s_and_not1_b32 exec_lo, exec_lo, s3
	s_cbranch_execz .LBB8_28
.LBB8_17:                               ;   Parent Loop BB8_9 Depth=1
                                        ; =>  This Loop Header: Depth=2
                                        ;       Child Loop BB8_21 Depth 3
	s_and_not1_b32 vcc_lo, exec_lo, s23
	s_mov_b32 s35, -1
	s_cbranch_vccnz .LBB8_25
; %bb.18:                               ;   in Loop: Header=BB8_17 Depth=2
	s_lshl_b64 s[36:37], s[16:17], 2
	s_mov_b32 s38, 0
	v_add_co_u32 v9, vcc_lo, v11, s36
	v_add_co_ci_u32_e32 v10, vcc_lo, s37, v12, vcc_lo
	s_mov_b32 s39, s12
                                        ; implicit-def: $sgpr37
                                        ; implicit-def: $sgpr36
                                        ; implicit-def: $sgpr40
                                        ; implicit-def: $sgpr41
	s_set_inst_prefetch_distance 0x1
	s_branch .LBB8_21
	.p2align	6
.LBB8_19:                               ;   in Loop: Header=BB8_21 Depth=3
	s_or_b32 exec_lo, exec_lo, s45
	v_mov_b32_e32 v15, 2
	s_and_not1_b32 s41, s41, exec_lo
	s_and_b32 s45, s46, exec_lo
	s_and_not1_b32 s40, s40, exec_lo
	s_and_b32 s44, s44, exec_lo
	s_or_b32 s41, s41, s45
	s_or_b32 s40, s40, s44
.LBB8_20:                               ;   in Loop: Header=BB8_21 Depth=3
	s_or_b32 exec_lo, exec_lo, s43
	s_xor_b32 s43, s41, -1
	s_and_b32 s44, exec_lo, s40
	s_delay_alu instid0(SALU_CYCLE_1)
	s_or_b32 s38, s44, s38
	s_and_not1_b32 s36, s36, exec_lo
	s_and_b32 s42, s42, exec_lo
	s_and_not1_b32 s37, s37, exec_lo
	s_and_b32 s43, s43, exec_lo
	s_or_b32 s36, s36, s42
	s_or_b32 s37, s37, s43
	s_and_not1_b32 exec_lo, exec_lo, s38
	s_cbranch_execz .LBB8_24
.LBB8_21:                               ;   Parent Loop BB8_9 Depth=1
                                        ;     Parent Loop BB8_17 Depth=2
                                        ; =>    This Inner Loop Header: Depth=3
	global_load_b32 v16, v[9:10], off
	v_mov_b32_e32 v15, 1
	s_mov_b32 s42, -1
	s_or_b32 s41, s41, exec_lo
	s_or_b32 s40, s40, exec_lo
	s_mov_b32 s43, exec_lo
	s_waitcnt vmcnt(0)
	v_cmpx_neq_f32_e32 0x7f800000, v16
	s_xor_b32 s43, exec_lo, s43
	s_cbranch_execz .LBB8_20
; %bb.22:                               ;   in Loop: Header=BB8_21 Depth=3
	s_mov_b32 s44, -1
	s_mov_b32 s46, -1
	s_mov_b32 s45, exec_lo
	v_cmpx_o_f32_e32 v16, v16
	s_cbranch_execz .LBB8_19
; %bb.23:                               ;   in Loop: Header=BB8_21 Depth=3
	s_add_i32 s39, s39, -1
	v_add_co_u32 v9, vcc_lo, v9, 4
	s_cmp_eq_u32 s39, 0
	v_add_co_ci_u32_e32 v10, vcc_lo, 0, v10, vcc_lo
	s_cselect_b32 s44, -1, 0
	s_xor_b32 s46, exec_lo, -1
	s_or_not1_b32 s44, s44, exec_lo
	s_branch .LBB8_19
.LBB8_24:                               ;   in Loop: Header=BB8_17 Depth=2
	s_set_inst_prefetch_distance 0x2
	s_or_b32 exec_lo, exec_lo, s38
	s_branch .LBB8_26
.LBB8_25:                               ;   in Loop: Header=BB8_17 Depth=2
	s_mov_b32 s37, -1
                                        ; implicit-def: $sgpr36
                                        ; implicit-def: $vgpr15
.LBB8_26:                               ;   in Loop: Header=BB8_17 Depth=2
	s_and_not1_b32 s34, s34, exec_lo
	s_and_b32 s38, s36, exec_lo
	s_delay_alu instid0(SALU_CYCLE_1)
	s_or_b32 s34, s34, s38
	s_and_saveexec_b32 s38, s37
	s_cbranch_execz .LBB8_16
; %bb.27:                               ;   in Loop: Header=BB8_17 Depth=2
	s_add_i32 s33, s33, 1
	s_add_i32 s16, s16, s12
	s_cmp_eq_u32 s33, s13
                                        ; implicit-def: $vgpr15
	s_cselect_b32 s35, -1, 0
	s_and_not1_b32 s36, s36, exec_lo
	s_and_not1_b32 s34, s34, exec_lo
	s_or_not1_b32 s35, s35, exec_lo
	s_branch .LBB8_16
.LBB8_28:                               ;   in Loop: Header=BB8_9 Depth=1
	s_or_b32 exec_lo, exec_lo, s3
	s_branch .LBB8_46
.LBB8_29:                               ;   in Loop: Header=BB8_9 Depth=1
	s_mov_b32 s2, 0
	s_mov_b32 s30, -1
	s_cbranch_execnz .LBB8_31
	s_branch .LBB8_46
.LBB8_30:                               ;   in Loop: Header=BB8_9 Depth=1
	s_mov_b32 s30, -1
	s_branch .LBB8_46
.LBB8_31:                               ;   in Loop: Header=BB8_9 Depth=1
	s_and_b32 vcc_lo, exec_lo, s23
	s_cbranch_vccz .LBB8_50
; %bb.32:                               ;   in Loop: Header=BB8_9 Depth=1
	s_mov_b32 s3, 0
	s_mov_b32 s33, 0
	;; [unrolled: 1-line block ×3, first 2 shown]
                                        ; implicit-def: $sgpr2
                                        ; implicit-def: $sgpr30
                                        ; implicit-def: $sgpr34
	s_branch .LBB8_34
.LBB8_33:                               ;   in Loop: Header=BB8_34 Depth=2
	s_or_b32 exec_lo, exec_lo, s38
	s_xor_b32 s36, s36, -1
	s_and_b32 s35, exec_lo, s35
	s_delay_alu instid0(SALU_CYCLE_1)
	s_or_b32 s3, s35, s3
	s_and_not1_b32 s30, s30, exec_lo
	s_and_b32 s35, s34, exec_lo
	s_and_not1_b32 s2, s2, exec_lo
	s_and_b32 s36, s36, exec_lo
	s_or_b32 s30, s30, s35
	s_or_b32 s2, s2, s36
	s_and_not1_b32 exec_lo, exec_lo, s3
	s_cbranch_execz .LBB8_45
.LBB8_34:                               ;   Parent Loop BB8_9 Depth=1
                                        ; =>  This Loop Header: Depth=2
                                        ;       Child Loop BB8_38 Depth 3
	s_and_not1_b32 vcc_lo, exec_lo, s22
	s_mov_b32 s35, -1
	s_cbranch_vccnz .LBB8_42
; %bb.35:                               ;   in Loop: Header=BB8_34 Depth=2
	s_lshl_b64 s[36:37], s[16:17], 2
	s_mov_b32 s38, 0
	v_add_co_u32 v9, vcc_lo, v11, s36
	v_add_co_ci_u32_e32 v10, vcc_lo, s37, v12, vcc_lo
	s_mov_b32 s39, s13
                                        ; implicit-def: $sgpr37
                                        ; implicit-def: $sgpr36
                                        ; implicit-def: $sgpr40
                                        ; implicit-def: $sgpr41
	s_set_inst_prefetch_distance 0x1
	s_branch .LBB8_38
	.p2align	6
.LBB8_36:                               ;   in Loop: Header=BB8_38 Depth=3
	s_or_b32 exec_lo, exec_lo, s45
	v_mov_b32_e32 v15, 2
	s_and_not1_b32 s41, s41, exec_lo
	s_and_b32 s45, s46, exec_lo
	s_and_not1_b32 s40, s40, exec_lo
	s_and_b32 s44, s44, exec_lo
	s_or_b32 s41, s41, s45
	s_or_b32 s40, s40, s44
.LBB8_37:                               ;   in Loop: Header=BB8_38 Depth=3
	s_or_b32 exec_lo, exec_lo, s43
	s_xor_b32 s43, s41, -1
	s_and_b32 s44, exec_lo, s40
	s_delay_alu instid0(SALU_CYCLE_1)
	s_or_b32 s38, s44, s38
	s_and_not1_b32 s36, s36, exec_lo
	s_and_b32 s42, s42, exec_lo
	s_and_not1_b32 s37, s37, exec_lo
	s_and_b32 s43, s43, exec_lo
	s_or_b32 s36, s36, s42
	s_or_b32 s37, s37, s43
	s_and_not1_b32 exec_lo, exec_lo, s38
	s_cbranch_execz .LBB8_41
.LBB8_38:                               ;   Parent Loop BB8_9 Depth=1
                                        ;     Parent Loop BB8_34 Depth=2
                                        ; =>    This Inner Loop Header: Depth=3
	global_load_b32 v16, v[9:10], off
	v_mov_b32_e32 v15, 1
	s_mov_b32 s42, -1
	s_or_b32 s41, s41, exec_lo
	s_or_b32 s40, s40, exec_lo
	s_mov_b32 s43, exec_lo
	s_waitcnt vmcnt(0)
	v_cmpx_neq_f32_e32 0x7f800000, v16
	s_xor_b32 s43, exec_lo, s43
	s_cbranch_execz .LBB8_37
; %bb.39:                               ;   in Loop: Header=BB8_38 Depth=3
	s_mov_b32 s44, -1
	s_mov_b32 s46, -1
	s_mov_b32 s45, exec_lo
	v_cmpx_o_f32_e32 v16, v16
	s_cbranch_execz .LBB8_36
; %bb.40:                               ;   in Loop: Header=BB8_38 Depth=3
	s_add_i32 s39, s39, -1
	v_add_co_u32 v9, vcc_lo, v9, 4
	s_cmp_eq_u32 s39, 0
	v_add_co_ci_u32_e32 v10, vcc_lo, 0, v10, vcc_lo
	s_cselect_b32 s44, -1, 0
	s_xor_b32 s46, exec_lo, -1
	s_or_not1_b32 s44, s44, exec_lo
	s_branch .LBB8_36
.LBB8_41:                               ;   in Loop: Header=BB8_34 Depth=2
	s_set_inst_prefetch_distance 0x2
	s_or_b32 exec_lo, exec_lo, s38
	s_branch .LBB8_43
.LBB8_42:                               ;   in Loop: Header=BB8_34 Depth=2
	s_mov_b32 s37, -1
                                        ; implicit-def: $sgpr36
                                        ; implicit-def: $vgpr15
.LBB8_43:                               ;   in Loop: Header=BB8_34 Depth=2
	s_and_not1_b32 s34, s34, exec_lo
	s_and_b32 s38, s36, exec_lo
	s_delay_alu instid0(SALU_CYCLE_1)
	s_or_b32 s34, s34, s38
	s_and_saveexec_b32 s38, s37
	s_cbranch_execz .LBB8_33
; %bb.44:                               ;   in Loop: Header=BB8_34 Depth=2
	s_add_i32 s33, s33, 1
	s_add_i32 s16, s16, s13
	s_cmp_eq_u32 s33, s12
                                        ; implicit-def: $vgpr15
	s_cselect_b32 s35, -1, 0
	s_and_not1_b32 s36, s36, exec_lo
	s_and_not1_b32 s34, s34, exec_lo
	s_or_not1_b32 s35, s35, exec_lo
	s_branch .LBB8_33
.LBB8_45:                               ;   in Loop: Header=BB8_9 Depth=1
	s_or_b32 exec_lo, exec_lo, s3
.LBB8_46:                               ;   in Loop: Header=BB8_9 Depth=1
	s_mov_b32 s3, -1
	s_and_saveexec_b32 s16, s2
	s_cbranch_execz .LBB8_6
.LBB8_47:                               ;   in Loop: Header=BB8_9 Depth=1
	s_and_b32 vcc_lo, exec_lo, s9
	s_mov_b32 s2, -1
	s_cbranch_vccz .LBB8_51
; %bb.48:                               ;   in Loop: Header=BB8_9 Depth=1
	s_and_b32 vcc_lo, exec_lo, s10
	s_cbranch_vccz .LBB8_52
; %bb.49:                               ;   in Loop: Header=BB8_9 Depth=1
	v_cmp_le_u32_e32 vcc_lo, v4, v14
	v_mov_b32_e32 v15, 7
	s_or_b32 s33, s30, exec_lo
	s_and_b32 s3, vcc_lo, exec_lo
	s_cbranch_execz .LBB8_53
	s_branch .LBB8_54
.LBB8_50:                               ;   in Loop: Header=BB8_9 Depth=1
	s_mov_b32 s2, -1
	s_mov_b32 s3, -1
	s_and_saveexec_b32 s16, s2
	s_cbranch_execz .LBB8_6
	s_branch .LBB8_47
.LBB8_51:                               ;   in Loop: Header=BB8_9 Depth=1
	s_mov_b32 s33, s30
	s_branch .LBB8_54
.LBB8_52:                               ;   in Loop: Header=BB8_9 Depth=1
	s_mov_b32 s3, 0
	s_mov_b32 s33, s30
.LBB8_53:                               ;   in Loop: Header=BB8_9 Depth=1
	v_cmp_ge_u32_e32 vcc_lo, v4, v14
	v_mov_b32_e32 v15, 7
	s_and_not1_b32 s3, s3, exec_lo
	s_or_b32 s33, s33, exec_lo
	s_and_b32 s34, vcc_lo, exec_lo
	s_delay_alu instid0(SALU_CYCLE_1)
	s_or_b32 s3, s3, s34
.LBB8_54:                               ;   in Loop: Header=BB8_9 Depth=1
	s_delay_alu instid0(SALU_CYCLE_1)
	s_and_saveexec_b32 s34, s3
	s_cbranch_execz .LBB8_5
; %bb.55:                               ;   in Loop: Header=BB8_9 Depth=1
	s_or_b32 s31, s11, s31
	s_mov_b32 s3, s33
	s_xor_b32 s2, s31, -1
	s_delay_alu instid0(SALU_CYCLE_1)
	s_and_saveexec_b32 s35, s2
	s_cbranch_execz .LBB8_57
; %bb.56:                               ;   in Loop: Header=BB8_9 Depth=1
	global_load_b32 v2, v[2:3], off offset:-4
	v_mov_b32_e32 v15, 6
	s_and_not1_b32 s31, s31, exec_lo
	s_waitcnt vmcnt(0)
	v_subrev_nc_u32_e32 v3, s8, v2
	v_cmp_gt_i32_e64 s3, v13, v2
	s_delay_alu instid0(VALU_DEP_2) | instskip(SKIP_1) | instid1(VALU_DEP_1)
	v_cmp_lt_i32_e32 vcc_lo, -1, v3
	v_cmp_gt_i32_e64 s2, s18, v3
	s_and_b32 s2, vcc_lo, s2
	s_delay_alu instid0(SALU_CYCLE_1) | instskip(NEXT) | instid1(SALU_CYCLE_1)
	s_xor_b32 s2, s2, -1
	s_or_b32 s2, s3, s2
	s_or_b32 s3, s33, exec_lo
	s_and_b32 s2, s2, exec_lo
	s_delay_alu instid0(SALU_CYCLE_1)
	s_or_b32 s31, s31, s2
.LBB8_57:                               ;   in Loop: Header=BB8_9 Depth=1
	s_or_b32 exec_lo, exec_lo, s35
	s_mov_b32 s2, -1
	s_and_saveexec_b32 s35, s31
	s_cbranch_execz .LBB8_4
; %bb.58:                               ;   in Loop: Header=BB8_9 Depth=1
	v_add_co_u32 v0, vcc_lo, v0, 1
	v_add_co_ci_u32_e32 v1, vcc_lo, 0, v1, vcc_lo
	v_add_co_u32 v11, s2, v11, s6
	s_delay_alu instid0(VALU_DEP_1) | instskip(NEXT) | instid1(VALU_DEP_3)
	v_add_co_ci_u32_e64 v12, s2, s7, v12, s2
	v_cmp_ge_i64_e32 vcc_lo, v[0:1], v[5:6]
	s_and_not1_b32 s3, s3, exec_lo
                                        ; implicit-def: $vgpr15
	s_or_not1_b32 s2, vcc_lo, exec_lo
	s_branch .LBB8_4
.LBB8_59:
	s_or_b32 exec_lo, exec_lo, s15
	s_delay_alu instid0(SALU_CYCLE_1)
	s_and_b32 s2, s25, exec_lo
.LBB8_60:
	s_or_b32 exec_lo, exec_lo, s20
	s_delay_alu instid0(SALU_CYCLE_1)
	s_or_not1_b32 s2, s2, exec_lo
.LBB8_61:
	s_or_b32 exec_lo, exec_lo, s19
	s_delay_alu instid0(SALU_CYCLE_1)
	s_and_b32 exec_lo, exec_lo, s2
	s_cbranch_execz .LBB8_63
; %bb.62:
	s_load_b64 s[0:1], s[0:1], 0x50
	v_mov_b32_e32 v0, 0
	s_waitcnt lgkmcnt(0)
	global_store_b32 v0, v15, s[0:1]
.LBB8_63:
	s_nop 0
	s_sendmsg sendmsg(MSG_DEALLOC_VGPRS)
	s_endpgm
	.section	.rodata,"a",@progbits
	.p2align	6, 0x0
	.amdhsa_kernel _ZN9rocsparseL25check_matrix_gebsr_deviceILj256EfliEEv20rocsparse_direction_T2_S2_T1_S2_S2_PKT0_PKS3_PKS2_SA_21rocsparse_index_base_22rocsparse_matrix_type_20rocsparse_fill_mode_23rocsparse_storage_mode_P22rocsparse_data_status_
		.amdhsa_group_segment_fixed_size 0
		.amdhsa_private_segment_fixed_size 0
		.amdhsa_kernarg_size 88
		.amdhsa_user_sgpr_count 15
		.amdhsa_user_sgpr_dispatch_ptr 0
		.amdhsa_user_sgpr_queue_ptr 0
		.amdhsa_user_sgpr_kernarg_segment_ptr 1
		.amdhsa_user_sgpr_dispatch_id 0
		.amdhsa_user_sgpr_private_segment_size 0
		.amdhsa_wavefront_size32 1
		.amdhsa_uses_dynamic_stack 0
		.amdhsa_enable_private_segment 0
		.amdhsa_system_sgpr_workgroup_id_x 1
		.amdhsa_system_sgpr_workgroup_id_y 0
		.amdhsa_system_sgpr_workgroup_id_z 0
		.amdhsa_system_sgpr_workgroup_info 0
		.amdhsa_system_vgpr_workitem_id 0
		.amdhsa_next_free_vgpr 17
		.amdhsa_next_free_sgpr 47
		.amdhsa_reserve_vcc 1
		.amdhsa_float_round_mode_32 0
		.amdhsa_float_round_mode_16_64 0
		.amdhsa_float_denorm_mode_32 3
		.amdhsa_float_denorm_mode_16_64 3
		.amdhsa_dx10_clamp 1
		.amdhsa_ieee_mode 1
		.amdhsa_fp16_overflow 0
		.amdhsa_workgroup_processor_mode 1
		.amdhsa_memory_ordered 1
		.amdhsa_forward_progress 0
		.amdhsa_shared_vgpr_count 0
		.amdhsa_exception_fp_ieee_invalid_op 0
		.amdhsa_exception_fp_denorm_src 0
		.amdhsa_exception_fp_ieee_div_zero 0
		.amdhsa_exception_fp_ieee_overflow 0
		.amdhsa_exception_fp_ieee_underflow 0
		.amdhsa_exception_fp_ieee_inexact 0
		.amdhsa_exception_int_div_zero 0
	.end_amdhsa_kernel
	.section	.text._ZN9rocsparseL25check_matrix_gebsr_deviceILj256EfliEEv20rocsparse_direction_T2_S2_T1_S2_S2_PKT0_PKS3_PKS2_SA_21rocsparse_index_base_22rocsparse_matrix_type_20rocsparse_fill_mode_23rocsparse_storage_mode_P22rocsparse_data_status_,"axG",@progbits,_ZN9rocsparseL25check_matrix_gebsr_deviceILj256EfliEEv20rocsparse_direction_T2_S2_T1_S2_S2_PKT0_PKS3_PKS2_SA_21rocsparse_index_base_22rocsparse_matrix_type_20rocsparse_fill_mode_23rocsparse_storage_mode_P22rocsparse_data_status_,comdat
.Lfunc_end8:
	.size	_ZN9rocsparseL25check_matrix_gebsr_deviceILj256EfliEEv20rocsparse_direction_T2_S2_T1_S2_S2_PKT0_PKS3_PKS2_SA_21rocsparse_index_base_22rocsparse_matrix_type_20rocsparse_fill_mode_23rocsparse_storage_mode_P22rocsparse_data_status_, .Lfunc_end8-_ZN9rocsparseL25check_matrix_gebsr_deviceILj256EfliEEv20rocsparse_direction_T2_S2_T1_S2_S2_PKT0_PKS3_PKS2_SA_21rocsparse_index_base_22rocsparse_matrix_type_20rocsparse_fill_mode_23rocsparse_storage_mode_P22rocsparse_data_status_
                                        ; -- End function
	.section	.AMDGPU.csdata,"",@progbits
; Kernel info:
; codeLenInByte = 1928
; NumSgprs: 49
; NumVgprs: 17
; ScratchSize: 0
; MemoryBound: 0
; FloatMode: 240
; IeeeMode: 1
; LDSByteSize: 0 bytes/workgroup (compile time only)
; SGPRBlocks: 6
; VGPRBlocks: 2
; NumSGPRsForWavesPerEU: 49
; NumVGPRsForWavesPerEU: 17
; Occupancy: 16
; WaveLimiterHint : 0
; COMPUTE_PGM_RSRC2:SCRATCH_EN: 0
; COMPUTE_PGM_RSRC2:USER_SGPR: 15
; COMPUTE_PGM_RSRC2:TRAP_HANDLER: 0
; COMPUTE_PGM_RSRC2:TGID_X_EN: 1
; COMPUTE_PGM_RSRC2:TGID_Y_EN: 0
; COMPUTE_PGM_RSRC2:TGID_Z_EN: 0
; COMPUTE_PGM_RSRC2:TIDIG_COMP_CNT: 0
	.section	.text._ZN9rocsparseL25check_matrix_gebsr_deviceILj256EdliEEv20rocsparse_direction_T2_S2_T1_S2_S2_PKT0_PKS3_PKS2_SA_21rocsparse_index_base_22rocsparse_matrix_type_20rocsparse_fill_mode_23rocsparse_storage_mode_P22rocsparse_data_status_,"axG",@progbits,_ZN9rocsparseL25check_matrix_gebsr_deviceILj256EdliEEv20rocsparse_direction_T2_S2_T1_S2_S2_PKT0_PKS3_PKS2_SA_21rocsparse_index_base_22rocsparse_matrix_type_20rocsparse_fill_mode_23rocsparse_storage_mode_P22rocsparse_data_status_,comdat
	.globl	_ZN9rocsparseL25check_matrix_gebsr_deviceILj256EdliEEv20rocsparse_direction_T2_S2_T1_S2_S2_PKT0_PKS3_PKS2_SA_21rocsparse_index_base_22rocsparse_matrix_type_20rocsparse_fill_mode_23rocsparse_storage_mode_P22rocsparse_data_status_ ; -- Begin function _ZN9rocsparseL25check_matrix_gebsr_deviceILj256EdliEEv20rocsparse_direction_T2_S2_T1_S2_S2_PKT0_PKS3_PKS2_SA_21rocsparse_index_base_22rocsparse_matrix_type_20rocsparse_fill_mode_23rocsparse_storage_mode_P22rocsparse_data_status_
	.p2align	8
	.type	_ZN9rocsparseL25check_matrix_gebsr_deviceILj256EdliEEv20rocsparse_direction_T2_S2_T1_S2_S2_PKT0_PKS3_PKS2_SA_21rocsparse_index_base_22rocsparse_matrix_type_20rocsparse_fill_mode_23rocsparse_storage_mode_P22rocsparse_data_status_,@function
_ZN9rocsparseL25check_matrix_gebsr_deviceILj256EdliEEv20rocsparse_direction_T2_S2_T1_S2_S2_PKT0_PKS3_PKS2_SA_21rocsparse_index_base_22rocsparse_matrix_type_20rocsparse_fill_mode_23rocsparse_storage_mode_P22rocsparse_data_status_: ; @_ZN9rocsparseL25check_matrix_gebsr_deviceILj256EdliEEv20rocsparse_direction_T2_S2_T1_S2_S2_PKT0_PKS3_PKS2_SA_21rocsparse_index_base_22rocsparse_matrix_type_20rocsparse_fill_mode_23rocsparse_storage_mode_P22rocsparse_data_status_
; %bb.0:
	s_load_b128 s[16:19], s[0:1], 0x0
	v_mov_b32_e32 v5, 0
	v_lshl_or_b32 v4, s15, 8, v0
	s_waitcnt lgkmcnt(0)
	s_ashr_i32 s3, s17, 31
	s_mov_b32 s2, s17
	s_delay_alu instid0(VALU_DEP_1) | instid1(SALU_CYCLE_1)
	v_cmp_gt_i64_e32 vcc_lo, s[2:3], v[4:5]
	s_and_saveexec_b32 s2, vcc_lo
	s_cbranch_execz .LBB9_63
; %bb.1:
	s_load_b64 s[2:3], s[0:1], 0x28
	v_lshlrev_b64 v[0:1], 3, v[4:5]
	v_mov_b32_e32 v17, 3
	s_waitcnt lgkmcnt(0)
	s_delay_alu instid0(VALU_DEP_2) | instskip(NEXT) | instid1(VALU_DEP_3)
	v_add_co_u32 v0, vcc_lo, s2, v0
	v_add_co_ci_u32_e32 v1, vcc_lo, s3, v1, vcc_lo
	s_load_b64 s[2:3], s[2:3], 0x0
	global_load_b128 v[0:3], v[0:1], off
	s_waitcnt vmcnt(0) lgkmcnt(0)
	v_sub_co_u32 v5, vcc_lo, v2, s2
	v_subrev_co_ci_u32_e32 v6, vcc_lo, s3, v3, vcc_lo
	v_sub_co_u32 v7, vcc_lo, v0, s2
	v_subrev_co_ci_u32_e32 v8, vcc_lo, s3, v1, vcc_lo
	s_delay_alu instid0(VALU_DEP_3) | instskip(SKIP_1) | instid1(VALU_DEP_3)
	v_cmp_gt_i64_e32 vcc_lo, 0, v[5:6]
	v_cmp_lt_i64_e64 s2, v[2:3], v[0:1]
	v_cmp_lt_i64_e64 s3, -1, v[7:8]
	s_delay_alu instid0(VALU_DEP_2) | instskip(NEXT) | instid1(SALU_CYCLE_1)
	s_or_b32 s2, vcc_lo, s2
	s_xor_b32 s4, s2, -1
	s_mov_b32 s2, -1
	s_delay_alu instid0(VALU_DEP_1) | instskip(NEXT) | instid1(SALU_CYCLE_1)
	s_and_b32 s3, s3, s4
	s_and_saveexec_b32 s19, s3
	s_cbranch_execz .LBB9_61
; %bb.2:
	v_mov_b32_e32 v17, 3
	s_mov_b32 s2, 0
	s_mov_b32 s20, exec_lo
	v_cmpx_lt_i64_e64 v[0:1], v[2:3]
	s_cbranch_execz .LBB9_60
; %bb.3:
	s_clause 0x1
	s_load_b128 s[12:15], s[0:1], 0x18
	s_load_b256 s[4:11], s[0:1], 0x30
	s_cmp_lg_u32 s16, 0
	s_mov_b32 s17, 0
	s_cselect_b32 s21, -1, 0
                                        ; implicit-def: $sgpr25
                                        ; implicit-def: $sgpr26
                                        ; implicit-def: $sgpr27
	s_waitcnt lgkmcnt(0)
	s_mul_hi_i32 s3, s13, s12
	s_mul_i32 s2, s13, s12
	v_mul_lo_u32 v2, s3, v7
	v_mul_lo_u32 v3, s2, v8
	v_mad_u64_u32 v[0:1], null, s2, v7, 0
	s_cmp_gt_i32 s13, 0
	s_cselect_b32 s22, -1, 0
	s_cmp_gt_i32 s12, 0
	s_cselect_b32 s23, -1, 0
	s_delay_alu instid0(VALU_DEP_1) | instskip(SKIP_3) | instid1(VALU_DEP_1)
	v_add3_u32 v1, v1, v3, v2
	s_cmp_lg_u32 s9, 0
	s_cselect_b32 s9, -1, 0
	s_cmp_lg_u32 s10, 0
	v_lshlrev_b64 v[0:1], 3, v[0:1]
	s_cselect_b32 s10, -1, 0
	s_cmp_lg_u32 s11, 0
	s_cselect_b32 s11, -1, 0
	s_add_u32 s24, s6, -4
	s_delay_alu instid0(VALU_DEP_1)
	v_add_co_u32 v13, vcc_lo, s14, v0
	v_add_co_ci_u32_e32 v14, vcc_lo, s15, v1, vcc_lo
	v_dual_mov_b32 v0, v7 :: v_dual_mov_b32 v1, v8
	s_addc_u32 s14, s7, -1
	s_lshl_b64 s[6:7], s[2:3], 3
	s_mov_b32 s15, 0
	s_branch .LBB9_9
.LBB9_4:                                ;   in Loop: Header=BB9_9 Depth=1
	s_or_b32 exec_lo, exec_lo, s35
	s_delay_alu instid0(SALU_CYCLE_1)
	s_and_not1_b32 s31, s33, exec_lo
	s_and_b32 s3, s3, exec_lo
	s_or_not1_b32 s2, s2, exec_lo
	s_or_b32 s33, s31, s3
.LBB9_5:                                ;   in Loop: Header=BB9_9 Depth=1
	s_or_b32 exec_lo, exec_lo, s34
	s_delay_alu instid0(SALU_CYCLE_1) | instskip(SKIP_1) | instid1(SALU_CYCLE_1)
	s_and_not1_b32 s3, s30, exec_lo
	s_and_b32 s30, s33, exec_lo
	s_or_b32 s30, s3, s30
	s_or_not1_b32 s3, s2, exec_lo
.LBB9_6:                                ;   in Loop: Header=BB9_9 Depth=1
	s_or_b32 exec_lo, exec_lo, s16
	s_delay_alu instid0(SALU_CYCLE_1)
	s_or_not1_b32 s16, s30, exec_lo
	s_or_not1_b32 s2, s3, exec_lo
.LBB9_7:                                ;   in Loop: Header=BB9_9 Depth=1
	s_or_b32 exec_lo, exec_lo, s29
	s_delay_alu instid0(SALU_CYCLE_1)
	s_and_not1_b32 s3, s27, exec_lo
	s_and_b32 s16, s16, exec_lo
	s_and_not1_b32 s26, s26, exec_lo
	s_and_b32 s2, s2, exec_lo
	s_or_b32 s27, s3, s16
	s_or_b32 s26, s26, s2
.LBB9_8:                                ;   in Loop: Header=BB9_9 Depth=1
	s_or_b32 exec_lo, exec_lo, s28
	s_delay_alu instid0(SALU_CYCLE_1) | instskip(NEXT) | instid1(SALU_CYCLE_1)
	s_and_b32 s2, exec_lo, s26
	s_or_b32 s15, s2, s15
	s_and_not1_b32 s2, s25, exec_lo
	s_and_b32 s3, s27, exec_lo
	s_delay_alu instid0(SALU_CYCLE_1)
	s_or_b32 s25, s2, s3
	s_and_not1_b32 exec_lo, exec_lo, s15
	s_cbranch_execz .LBB9_59
.LBB9_9:                                ; =>This Loop Header: Depth=1
                                        ;     Child Loop BB9_34 Depth 2
                                        ;       Child Loop BB9_38 Depth 3
                                        ;     Child Loop BB9_17 Depth 2
                                        ;       Child Loop BB9_21 Depth 3
	v_lshlrev_b64 v[9:10], 2, v[0:1]
	v_mov_b32_e32 v17, 4
	s_or_b32 s27, s27, exec_lo
	s_or_b32 s26, s26, exec_lo
	s_delay_alu instid0(VALU_DEP_2) | instskip(NEXT) | instid1(VALU_DEP_3)
	v_add_co_u32 v2, vcc_lo, s4, v9
	v_add_co_ci_u32_e32 v3, vcc_lo, s5, v10, vcc_lo
	global_load_b32 v15, v[2:3], off
	s_waitcnt vmcnt(0)
	v_subrev_nc_u32_e32 v16, s8, v15
	s_delay_alu instid0(VALU_DEP_1) | instskip(SKIP_1) | instid1(VALU_DEP_1)
	v_cmp_lt_i32_e32 vcc_lo, -1, v16
	v_cmp_gt_i32_e64 s2, s18, v16
	s_and_b32 s2, vcc_lo, s2
	s_delay_alu instid0(SALU_CYCLE_1)
	s_and_saveexec_b32 s28, s2
	s_cbranch_execz .LBB9_8
; %bb.10:                               ;   in Loop: Header=BB9_9 Depth=1
	v_cmp_le_i64_e64 s31, v[0:1], v[7:8]
	v_mov_b32_e32 v17, 4
	s_mov_b32 s16, exec_lo
	s_delay_alu instid0(VALU_DEP_2)
	s_mov_b32 s3, s31
	v_cmpx_gt_i64_e64 v[0:1], v[7:8]
	s_cbranch_execz .LBB9_12
; %bb.11:                               ;   in Loop: Header=BB9_9 Depth=1
	v_add_co_u32 v9, vcc_lo, s24, v9
	v_add_co_ci_u32_e32 v10, vcc_lo, s14, v10, vcc_lo
	v_mov_b32_e32 v17, 5
	global_load_b64 v[9:10], v[9:10], off
	s_waitcnt vmcnt(0)
	v_subrev_nc_u32_e32 v11, s8, v9
	v_cmp_ne_u32_e64 s3, v10, v9
	s_delay_alu instid0(VALU_DEP_2) | instskip(SKIP_1) | instid1(VALU_DEP_1)
	v_cmp_lt_i32_e32 vcc_lo, -1, v11
	v_cmp_gt_i32_e64 s2, s18, v11
	s_and_b32 s2, vcc_lo, s2
	s_delay_alu instid0(SALU_CYCLE_1) | instskip(NEXT) | instid1(SALU_CYCLE_1)
	s_xor_b32 s2, s2, -1
	s_or_b32 s2, s3, s2
	s_and_not1_b32 s3, s31, exec_lo
	s_and_b32 s2, s2, exec_lo
	s_delay_alu instid0(SALU_CYCLE_1)
	s_or_b32 s3, s3, s2
.LBB9_12:                               ;   in Loop: Header=BB9_9 Depth=1
	s_or_b32 exec_lo, exec_lo, s16
	s_mov_b32 s2, -1
	s_mov_b32 s16, -1
	s_and_saveexec_b32 s29, s3
	s_cbranch_execz .LBB9_7
; %bb.13:                               ;   in Loop: Header=BB9_9 Depth=1
	s_and_b32 vcc_lo, exec_lo, s21
	s_cbranch_vccz .LBB9_29
; %bb.14:                               ;   in Loop: Header=BB9_9 Depth=1
	s_and_b32 vcc_lo, exec_lo, s22
	s_cbranch_vccz .LBB9_30
; %bb.15:                               ;   in Loop: Header=BB9_9 Depth=1
	s_mov_b32 s3, 0
	s_mov_b32 s33, 0
	;; [unrolled: 1-line block ×3, first 2 shown]
                                        ; implicit-def: $sgpr2
                                        ; implicit-def: $sgpr30
                                        ; implicit-def: $sgpr34
	s_branch .LBB9_17
.LBB9_16:                               ;   in Loop: Header=BB9_17 Depth=2
	s_or_b32 exec_lo, exec_lo, s38
	s_xor_b32 s36, s36, -1
	s_and_b32 s35, exec_lo, s35
	s_delay_alu instid0(SALU_CYCLE_1)
	s_or_b32 s3, s35, s3
	s_and_not1_b32 s30, s30, exec_lo
	s_and_b32 s35, s34, exec_lo
	s_and_not1_b32 s2, s2, exec_lo
	s_and_b32 s36, s36, exec_lo
	s_or_b32 s30, s30, s35
	s_or_b32 s2, s2, s36
	s_and_not1_b32 exec_lo, exec_lo, s3
	s_cbranch_execz .LBB9_28
.LBB9_17:                               ;   Parent Loop BB9_9 Depth=1
                                        ; =>  This Loop Header: Depth=2
                                        ;       Child Loop BB9_21 Depth 3
	s_and_not1_b32 vcc_lo, exec_lo, s23
	s_mov_b32 s35, -1
	s_cbranch_vccnz .LBB9_25
; %bb.18:                               ;   in Loop: Header=BB9_17 Depth=2
	s_lshl_b64 s[36:37], s[16:17], 3
	s_mov_b32 s38, 0
	v_add_co_u32 v9, vcc_lo, v13, s36
	v_add_co_ci_u32_e32 v10, vcc_lo, s37, v14, vcc_lo
	s_mov_b32 s39, s12
                                        ; implicit-def: $sgpr37
                                        ; implicit-def: $sgpr36
                                        ; implicit-def: $sgpr40
                                        ; implicit-def: $sgpr41
	s_set_inst_prefetch_distance 0x1
	s_branch .LBB9_21
	.p2align	6
.LBB9_19:                               ;   in Loop: Header=BB9_21 Depth=3
	s_or_b32 exec_lo, exec_lo, s45
	v_mov_b32_e32 v17, 2
	s_and_not1_b32 s41, s41, exec_lo
	s_and_b32 s45, s46, exec_lo
	s_and_not1_b32 s40, s40, exec_lo
	s_and_b32 s44, s44, exec_lo
	s_or_b32 s41, s41, s45
	s_or_b32 s40, s40, s44
.LBB9_20:                               ;   in Loop: Header=BB9_21 Depth=3
	s_or_b32 exec_lo, exec_lo, s43
	s_xor_b32 s43, s41, -1
	s_and_b32 s44, exec_lo, s40
	s_delay_alu instid0(SALU_CYCLE_1)
	s_or_b32 s38, s44, s38
	s_and_not1_b32 s36, s36, exec_lo
	s_and_b32 s42, s42, exec_lo
	s_and_not1_b32 s37, s37, exec_lo
	s_and_b32 s43, s43, exec_lo
	s_or_b32 s36, s36, s42
	s_or_b32 s37, s37, s43
	s_and_not1_b32 exec_lo, exec_lo, s38
	s_cbranch_execz .LBB9_24
.LBB9_21:                               ;   Parent Loop BB9_9 Depth=1
                                        ;     Parent Loop BB9_17 Depth=2
                                        ; =>    This Inner Loop Header: Depth=3
	global_load_b64 v[11:12], v[9:10], off
	v_mov_b32_e32 v17, 1
	s_mov_b32 s42, -1
	s_or_b32 s41, s41, exec_lo
	s_or_b32 s40, s40, exec_lo
	s_mov_b32 s43, exec_lo
	s_waitcnt vmcnt(0)
	v_cmpx_neq_f64_e32 0x7ff00000, v[11:12]
	s_xor_b32 s43, exec_lo, s43
	s_cbranch_execz .LBB9_20
; %bb.22:                               ;   in Loop: Header=BB9_21 Depth=3
	s_mov_b32 s44, -1
	s_mov_b32 s46, -1
	s_mov_b32 s45, exec_lo
	v_cmpx_o_f64_e32 v[11:12], v[11:12]
	s_cbranch_execz .LBB9_19
; %bb.23:                               ;   in Loop: Header=BB9_21 Depth=3
	s_add_i32 s39, s39, -1
	v_add_co_u32 v9, vcc_lo, v9, 8
	s_cmp_eq_u32 s39, 0
	v_add_co_ci_u32_e32 v10, vcc_lo, 0, v10, vcc_lo
	s_cselect_b32 s44, -1, 0
	s_xor_b32 s46, exec_lo, -1
	s_or_not1_b32 s44, s44, exec_lo
	s_branch .LBB9_19
.LBB9_24:                               ;   in Loop: Header=BB9_17 Depth=2
	s_set_inst_prefetch_distance 0x2
	s_or_b32 exec_lo, exec_lo, s38
	s_branch .LBB9_26
.LBB9_25:                               ;   in Loop: Header=BB9_17 Depth=2
	s_mov_b32 s37, -1
                                        ; implicit-def: $sgpr36
                                        ; implicit-def: $vgpr17
.LBB9_26:                               ;   in Loop: Header=BB9_17 Depth=2
	s_and_not1_b32 s34, s34, exec_lo
	s_and_b32 s38, s36, exec_lo
	s_delay_alu instid0(SALU_CYCLE_1)
	s_or_b32 s34, s34, s38
	s_and_saveexec_b32 s38, s37
	s_cbranch_execz .LBB9_16
; %bb.27:                               ;   in Loop: Header=BB9_17 Depth=2
	s_add_i32 s33, s33, 1
	s_add_i32 s16, s16, s12
	s_cmp_eq_u32 s33, s13
                                        ; implicit-def: $vgpr17
	s_cselect_b32 s35, -1, 0
	s_and_not1_b32 s36, s36, exec_lo
	s_and_not1_b32 s34, s34, exec_lo
	s_or_not1_b32 s35, s35, exec_lo
	s_branch .LBB9_16
.LBB9_28:                               ;   in Loop: Header=BB9_9 Depth=1
	s_or_b32 exec_lo, exec_lo, s3
	s_branch .LBB9_46
.LBB9_29:                               ;   in Loop: Header=BB9_9 Depth=1
	s_mov_b32 s2, 0
	s_mov_b32 s30, -1
	s_cbranch_execnz .LBB9_31
	s_branch .LBB9_46
.LBB9_30:                               ;   in Loop: Header=BB9_9 Depth=1
	s_mov_b32 s30, -1
	s_branch .LBB9_46
.LBB9_31:                               ;   in Loop: Header=BB9_9 Depth=1
	s_and_b32 vcc_lo, exec_lo, s23
	s_cbranch_vccz .LBB9_50
; %bb.32:                               ;   in Loop: Header=BB9_9 Depth=1
	s_mov_b32 s3, 0
	s_mov_b32 s33, 0
	s_mov_b32 s16, s3
                                        ; implicit-def: $sgpr2
                                        ; implicit-def: $sgpr30
                                        ; implicit-def: $sgpr34
	s_branch .LBB9_34
.LBB9_33:                               ;   in Loop: Header=BB9_34 Depth=2
	s_or_b32 exec_lo, exec_lo, s38
	s_xor_b32 s36, s36, -1
	s_and_b32 s35, exec_lo, s35
	s_delay_alu instid0(SALU_CYCLE_1)
	s_or_b32 s3, s35, s3
	s_and_not1_b32 s30, s30, exec_lo
	s_and_b32 s35, s34, exec_lo
	s_and_not1_b32 s2, s2, exec_lo
	s_and_b32 s36, s36, exec_lo
	s_or_b32 s30, s30, s35
	s_or_b32 s2, s2, s36
	s_and_not1_b32 exec_lo, exec_lo, s3
	s_cbranch_execz .LBB9_45
.LBB9_34:                               ;   Parent Loop BB9_9 Depth=1
                                        ; =>  This Loop Header: Depth=2
                                        ;       Child Loop BB9_38 Depth 3
	s_and_not1_b32 vcc_lo, exec_lo, s22
	s_mov_b32 s35, -1
	s_cbranch_vccnz .LBB9_42
; %bb.35:                               ;   in Loop: Header=BB9_34 Depth=2
	s_lshl_b64 s[36:37], s[16:17], 3
	s_mov_b32 s38, 0
	v_add_co_u32 v9, vcc_lo, v13, s36
	v_add_co_ci_u32_e32 v10, vcc_lo, s37, v14, vcc_lo
	s_mov_b32 s39, s13
                                        ; implicit-def: $sgpr37
                                        ; implicit-def: $sgpr36
                                        ; implicit-def: $sgpr40
                                        ; implicit-def: $sgpr41
	s_set_inst_prefetch_distance 0x1
	s_branch .LBB9_38
	.p2align	6
.LBB9_36:                               ;   in Loop: Header=BB9_38 Depth=3
	s_or_b32 exec_lo, exec_lo, s45
	v_mov_b32_e32 v17, 2
	s_and_not1_b32 s41, s41, exec_lo
	s_and_b32 s45, s46, exec_lo
	s_and_not1_b32 s40, s40, exec_lo
	s_and_b32 s44, s44, exec_lo
	s_or_b32 s41, s41, s45
	s_or_b32 s40, s40, s44
.LBB9_37:                               ;   in Loop: Header=BB9_38 Depth=3
	s_or_b32 exec_lo, exec_lo, s43
	s_xor_b32 s43, s41, -1
	s_and_b32 s44, exec_lo, s40
	s_delay_alu instid0(SALU_CYCLE_1)
	s_or_b32 s38, s44, s38
	s_and_not1_b32 s36, s36, exec_lo
	s_and_b32 s42, s42, exec_lo
	s_and_not1_b32 s37, s37, exec_lo
	s_and_b32 s43, s43, exec_lo
	s_or_b32 s36, s36, s42
	s_or_b32 s37, s37, s43
	s_and_not1_b32 exec_lo, exec_lo, s38
	s_cbranch_execz .LBB9_41
.LBB9_38:                               ;   Parent Loop BB9_9 Depth=1
                                        ;     Parent Loop BB9_34 Depth=2
                                        ; =>    This Inner Loop Header: Depth=3
	global_load_b64 v[11:12], v[9:10], off
	v_mov_b32_e32 v17, 1
	s_mov_b32 s42, -1
	s_or_b32 s41, s41, exec_lo
	s_or_b32 s40, s40, exec_lo
	s_mov_b32 s43, exec_lo
	s_waitcnt vmcnt(0)
	v_cmpx_neq_f64_e32 0x7ff00000, v[11:12]
	s_xor_b32 s43, exec_lo, s43
	s_cbranch_execz .LBB9_37
; %bb.39:                               ;   in Loop: Header=BB9_38 Depth=3
	s_mov_b32 s44, -1
	s_mov_b32 s46, -1
	s_mov_b32 s45, exec_lo
	v_cmpx_o_f64_e32 v[11:12], v[11:12]
	s_cbranch_execz .LBB9_36
; %bb.40:                               ;   in Loop: Header=BB9_38 Depth=3
	s_add_i32 s39, s39, -1
	v_add_co_u32 v9, vcc_lo, v9, 8
	s_cmp_eq_u32 s39, 0
	v_add_co_ci_u32_e32 v10, vcc_lo, 0, v10, vcc_lo
	s_cselect_b32 s44, -1, 0
	s_xor_b32 s46, exec_lo, -1
	s_or_not1_b32 s44, s44, exec_lo
	s_branch .LBB9_36
.LBB9_41:                               ;   in Loop: Header=BB9_34 Depth=2
	s_set_inst_prefetch_distance 0x2
	s_or_b32 exec_lo, exec_lo, s38
	s_branch .LBB9_43
.LBB9_42:                               ;   in Loop: Header=BB9_34 Depth=2
	s_mov_b32 s37, -1
                                        ; implicit-def: $sgpr36
                                        ; implicit-def: $vgpr17
.LBB9_43:                               ;   in Loop: Header=BB9_34 Depth=2
	s_and_not1_b32 s34, s34, exec_lo
	s_and_b32 s38, s36, exec_lo
	s_delay_alu instid0(SALU_CYCLE_1)
	s_or_b32 s34, s34, s38
	s_and_saveexec_b32 s38, s37
	s_cbranch_execz .LBB9_33
; %bb.44:                               ;   in Loop: Header=BB9_34 Depth=2
	s_add_i32 s33, s33, 1
	s_add_i32 s16, s16, s13
	s_cmp_eq_u32 s33, s12
                                        ; implicit-def: $vgpr17
	s_cselect_b32 s35, -1, 0
	s_and_not1_b32 s36, s36, exec_lo
	s_and_not1_b32 s34, s34, exec_lo
	s_or_not1_b32 s35, s35, exec_lo
	s_branch .LBB9_33
.LBB9_45:                               ;   in Loop: Header=BB9_9 Depth=1
	s_or_b32 exec_lo, exec_lo, s3
.LBB9_46:                               ;   in Loop: Header=BB9_9 Depth=1
	s_mov_b32 s3, -1
	s_and_saveexec_b32 s16, s2
	s_cbranch_execz .LBB9_6
.LBB9_47:                               ;   in Loop: Header=BB9_9 Depth=1
	s_and_b32 vcc_lo, exec_lo, s9
	s_mov_b32 s2, -1
	s_cbranch_vccz .LBB9_51
; %bb.48:                               ;   in Loop: Header=BB9_9 Depth=1
	s_and_b32 vcc_lo, exec_lo, s10
	s_cbranch_vccz .LBB9_52
; %bb.49:                               ;   in Loop: Header=BB9_9 Depth=1
	v_cmp_le_u32_e32 vcc_lo, v4, v16
	v_mov_b32_e32 v17, 7
	s_or_b32 s33, s30, exec_lo
	s_and_b32 s3, vcc_lo, exec_lo
	s_cbranch_execz .LBB9_53
	s_branch .LBB9_54
.LBB9_50:                               ;   in Loop: Header=BB9_9 Depth=1
	s_mov_b32 s2, -1
	s_mov_b32 s3, -1
	s_and_saveexec_b32 s16, s2
	s_cbranch_execz .LBB9_6
	s_branch .LBB9_47
.LBB9_51:                               ;   in Loop: Header=BB9_9 Depth=1
	s_mov_b32 s33, s30
	s_branch .LBB9_54
.LBB9_52:                               ;   in Loop: Header=BB9_9 Depth=1
	s_mov_b32 s3, 0
	s_mov_b32 s33, s30
.LBB9_53:                               ;   in Loop: Header=BB9_9 Depth=1
	v_cmp_ge_u32_e32 vcc_lo, v4, v16
	v_mov_b32_e32 v17, 7
	s_and_not1_b32 s3, s3, exec_lo
	s_or_b32 s33, s33, exec_lo
	s_and_b32 s34, vcc_lo, exec_lo
	s_delay_alu instid0(SALU_CYCLE_1)
	s_or_b32 s3, s3, s34
.LBB9_54:                               ;   in Loop: Header=BB9_9 Depth=1
	s_delay_alu instid0(SALU_CYCLE_1)
	s_and_saveexec_b32 s34, s3
	s_cbranch_execz .LBB9_5
; %bb.55:                               ;   in Loop: Header=BB9_9 Depth=1
	s_or_b32 s31, s11, s31
	s_mov_b32 s3, s33
	s_xor_b32 s2, s31, -1
	s_delay_alu instid0(SALU_CYCLE_1)
	s_and_saveexec_b32 s35, s2
	s_cbranch_execz .LBB9_57
; %bb.56:                               ;   in Loop: Header=BB9_9 Depth=1
	global_load_b32 v2, v[2:3], off offset:-4
	v_mov_b32_e32 v17, 6
	s_and_not1_b32 s31, s31, exec_lo
	s_waitcnt vmcnt(0)
	v_subrev_nc_u32_e32 v3, s8, v2
	v_cmp_gt_i32_e64 s3, v15, v2
	s_delay_alu instid0(VALU_DEP_2) | instskip(SKIP_1) | instid1(VALU_DEP_1)
	v_cmp_lt_i32_e32 vcc_lo, -1, v3
	v_cmp_gt_i32_e64 s2, s18, v3
	s_and_b32 s2, vcc_lo, s2
	s_delay_alu instid0(SALU_CYCLE_1) | instskip(NEXT) | instid1(SALU_CYCLE_1)
	s_xor_b32 s2, s2, -1
	s_or_b32 s2, s3, s2
	s_or_b32 s3, s33, exec_lo
	s_and_b32 s2, s2, exec_lo
	s_delay_alu instid0(SALU_CYCLE_1)
	s_or_b32 s31, s31, s2
.LBB9_57:                               ;   in Loop: Header=BB9_9 Depth=1
	s_or_b32 exec_lo, exec_lo, s35
	s_mov_b32 s2, -1
	s_and_saveexec_b32 s35, s31
	s_cbranch_execz .LBB9_4
; %bb.58:                               ;   in Loop: Header=BB9_9 Depth=1
	v_add_co_u32 v0, vcc_lo, v0, 1
	v_add_co_ci_u32_e32 v1, vcc_lo, 0, v1, vcc_lo
	v_add_co_u32 v13, s2, v13, s6
	s_delay_alu instid0(VALU_DEP_1) | instskip(NEXT) | instid1(VALU_DEP_3)
	v_add_co_ci_u32_e64 v14, s2, s7, v14, s2
	v_cmp_ge_i64_e32 vcc_lo, v[0:1], v[5:6]
	s_and_not1_b32 s3, s3, exec_lo
                                        ; implicit-def: $vgpr17
	s_or_not1_b32 s2, vcc_lo, exec_lo
	s_branch .LBB9_4
.LBB9_59:
	s_or_b32 exec_lo, exec_lo, s15
	s_delay_alu instid0(SALU_CYCLE_1)
	s_and_b32 s2, s25, exec_lo
.LBB9_60:
	s_or_b32 exec_lo, exec_lo, s20
	s_delay_alu instid0(SALU_CYCLE_1)
	s_or_not1_b32 s2, s2, exec_lo
.LBB9_61:
	s_or_b32 exec_lo, exec_lo, s19
	s_delay_alu instid0(SALU_CYCLE_1)
	s_and_b32 exec_lo, exec_lo, s2
	s_cbranch_execz .LBB9_63
; %bb.62:
	s_load_b64 s[0:1], s[0:1], 0x50
	v_mov_b32_e32 v0, 0
	s_waitcnt lgkmcnt(0)
	global_store_b32 v0, v17, s[0:1]
.LBB9_63:
	s_nop 0
	s_sendmsg sendmsg(MSG_DEALLOC_VGPRS)
	s_endpgm
	.section	.rodata,"a",@progbits
	.p2align	6, 0x0
	.amdhsa_kernel _ZN9rocsparseL25check_matrix_gebsr_deviceILj256EdliEEv20rocsparse_direction_T2_S2_T1_S2_S2_PKT0_PKS3_PKS2_SA_21rocsparse_index_base_22rocsparse_matrix_type_20rocsparse_fill_mode_23rocsparse_storage_mode_P22rocsparse_data_status_
		.amdhsa_group_segment_fixed_size 0
		.amdhsa_private_segment_fixed_size 0
		.amdhsa_kernarg_size 88
		.amdhsa_user_sgpr_count 15
		.amdhsa_user_sgpr_dispatch_ptr 0
		.amdhsa_user_sgpr_queue_ptr 0
		.amdhsa_user_sgpr_kernarg_segment_ptr 1
		.amdhsa_user_sgpr_dispatch_id 0
		.amdhsa_user_sgpr_private_segment_size 0
		.amdhsa_wavefront_size32 1
		.amdhsa_uses_dynamic_stack 0
		.amdhsa_enable_private_segment 0
		.amdhsa_system_sgpr_workgroup_id_x 1
		.amdhsa_system_sgpr_workgroup_id_y 0
		.amdhsa_system_sgpr_workgroup_id_z 0
		.amdhsa_system_sgpr_workgroup_info 0
		.amdhsa_system_vgpr_workitem_id 0
		.amdhsa_next_free_vgpr 18
		.amdhsa_next_free_sgpr 47
		.amdhsa_reserve_vcc 1
		.amdhsa_float_round_mode_32 0
		.amdhsa_float_round_mode_16_64 0
		.amdhsa_float_denorm_mode_32 3
		.amdhsa_float_denorm_mode_16_64 3
		.amdhsa_dx10_clamp 1
		.amdhsa_ieee_mode 1
		.amdhsa_fp16_overflow 0
		.amdhsa_workgroup_processor_mode 1
		.amdhsa_memory_ordered 1
		.amdhsa_forward_progress 0
		.amdhsa_shared_vgpr_count 0
		.amdhsa_exception_fp_ieee_invalid_op 0
		.amdhsa_exception_fp_denorm_src 0
		.amdhsa_exception_fp_ieee_div_zero 0
		.amdhsa_exception_fp_ieee_overflow 0
		.amdhsa_exception_fp_ieee_underflow 0
		.amdhsa_exception_fp_ieee_inexact 0
		.amdhsa_exception_int_div_zero 0
	.end_amdhsa_kernel
	.section	.text._ZN9rocsparseL25check_matrix_gebsr_deviceILj256EdliEEv20rocsparse_direction_T2_S2_T1_S2_S2_PKT0_PKS3_PKS2_SA_21rocsparse_index_base_22rocsparse_matrix_type_20rocsparse_fill_mode_23rocsparse_storage_mode_P22rocsparse_data_status_,"axG",@progbits,_ZN9rocsparseL25check_matrix_gebsr_deviceILj256EdliEEv20rocsparse_direction_T2_S2_T1_S2_S2_PKT0_PKS3_PKS2_SA_21rocsparse_index_base_22rocsparse_matrix_type_20rocsparse_fill_mode_23rocsparse_storage_mode_P22rocsparse_data_status_,comdat
.Lfunc_end9:
	.size	_ZN9rocsparseL25check_matrix_gebsr_deviceILj256EdliEEv20rocsparse_direction_T2_S2_T1_S2_S2_PKT0_PKS3_PKS2_SA_21rocsparse_index_base_22rocsparse_matrix_type_20rocsparse_fill_mode_23rocsparse_storage_mode_P22rocsparse_data_status_, .Lfunc_end9-_ZN9rocsparseL25check_matrix_gebsr_deviceILj256EdliEEv20rocsparse_direction_T2_S2_T1_S2_S2_PKT0_PKS3_PKS2_SA_21rocsparse_index_base_22rocsparse_matrix_type_20rocsparse_fill_mode_23rocsparse_storage_mode_P22rocsparse_data_status_
                                        ; -- End function
	.section	.AMDGPU.csdata,"",@progbits
; Kernel info:
; codeLenInByte = 1928
; NumSgprs: 49
; NumVgprs: 18
; ScratchSize: 0
; MemoryBound: 0
; FloatMode: 240
; IeeeMode: 1
; LDSByteSize: 0 bytes/workgroup (compile time only)
; SGPRBlocks: 6
; VGPRBlocks: 2
; NumSGPRsForWavesPerEU: 49
; NumVGPRsForWavesPerEU: 18
; Occupancy: 16
; WaveLimiterHint : 0
; COMPUTE_PGM_RSRC2:SCRATCH_EN: 0
; COMPUTE_PGM_RSRC2:USER_SGPR: 15
; COMPUTE_PGM_RSRC2:TRAP_HANDLER: 0
; COMPUTE_PGM_RSRC2:TGID_X_EN: 1
; COMPUTE_PGM_RSRC2:TGID_Y_EN: 0
; COMPUTE_PGM_RSRC2:TGID_Z_EN: 0
; COMPUTE_PGM_RSRC2:TIDIG_COMP_CNT: 0
	.section	.text._ZN9rocsparseL25check_matrix_gebsr_deviceILj256E21rocsparse_complex_numIfEliEEv20rocsparse_direction_T2_S4_T1_S4_S4_PKT0_PKS5_PKS4_SC_21rocsparse_index_base_22rocsparse_matrix_type_20rocsparse_fill_mode_23rocsparse_storage_mode_P22rocsparse_data_status_,"axG",@progbits,_ZN9rocsparseL25check_matrix_gebsr_deviceILj256E21rocsparse_complex_numIfEliEEv20rocsparse_direction_T2_S4_T1_S4_S4_PKT0_PKS5_PKS4_SC_21rocsparse_index_base_22rocsparse_matrix_type_20rocsparse_fill_mode_23rocsparse_storage_mode_P22rocsparse_data_status_,comdat
	.globl	_ZN9rocsparseL25check_matrix_gebsr_deviceILj256E21rocsparse_complex_numIfEliEEv20rocsparse_direction_T2_S4_T1_S4_S4_PKT0_PKS5_PKS4_SC_21rocsparse_index_base_22rocsparse_matrix_type_20rocsparse_fill_mode_23rocsparse_storage_mode_P22rocsparse_data_status_ ; -- Begin function _ZN9rocsparseL25check_matrix_gebsr_deviceILj256E21rocsparse_complex_numIfEliEEv20rocsparse_direction_T2_S4_T1_S4_S4_PKT0_PKS5_PKS4_SC_21rocsparse_index_base_22rocsparse_matrix_type_20rocsparse_fill_mode_23rocsparse_storage_mode_P22rocsparse_data_status_
	.p2align	8
	.type	_ZN9rocsparseL25check_matrix_gebsr_deviceILj256E21rocsparse_complex_numIfEliEEv20rocsparse_direction_T2_S4_T1_S4_S4_PKT0_PKS5_PKS4_SC_21rocsparse_index_base_22rocsparse_matrix_type_20rocsparse_fill_mode_23rocsparse_storage_mode_P22rocsparse_data_status_,@function
_ZN9rocsparseL25check_matrix_gebsr_deviceILj256E21rocsparse_complex_numIfEliEEv20rocsparse_direction_T2_S4_T1_S4_S4_PKT0_PKS5_PKS4_SC_21rocsparse_index_base_22rocsparse_matrix_type_20rocsparse_fill_mode_23rocsparse_storage_mode_P22rocsparse_data_status_: ; @_ZN9rocsparseL25check_matrix_gebsr_deviceILj256E21rocsparse_complex_numIfEliEEv20rocsparse_direction_T2_S4_T1_S4_S4_PKT0_PKS5_PKS4_SC_21rocsparse_index_base_22rocsparse_matrix_type_20rocsparse_fill_mode_23rocsparse_storage_mode_P22rocsparse_data_status_
; %bb.0:
	s_load_b128 s[16:19], s[0:1], 0x0
	v_mov_b32_e32 v5, 0
	v_lshl_or_b32 v4, s15, 8, v0
	s_waitcnt lgkmcnt(0)
	s_ashr_i32 s3, s17, 31
	s_mov_b32 s2, s17
	s_delay_alu instid0(VALU_DEP_1) | instid1(SALU_CYCLE_1)
	v_cmp_gt_i64_e32 vcc_lo, s[2:3], v[4:5]
	s_and_saveexec_b32 s2, vcc_lo
	s_cbranch_execz .LBB10_63
; %bb.1:
	s_load_b64 s[2:3], s[0:1], 0x28
	v_lshlrev_b64 v[0:1], 3, v[4:5]
	v_mov_b32_e32 v15, 3
	s_waitcnt lgkmcnt(0)
	s_delay_alu instid0(VALU_DEP_2) | instskip(NEXT) | instid1(VALU_DEP_3)
	v_add_co_u32 v0, vcc_lo, s2, v0
	v_add_co_ci_u32_e32 v1, vcc_lo, s3, v1, vcc_lo
	s_load_b64 s[2:3], s[2:3], 0x0
	global_load_b128 v[0:3], v[0:1], off
	s_waitcnt vmcnt(0) lgkmcnt(0)
	v_sub_co_u32 v5, vcc_lo, v2, s2
	v_subrev_co_ci_u32_e32 v6, vcc_lo, s3, v3, vcc_lo
	v_sub_co_u32 v7, vcc_lo, v0, s2
	v_subrev_co_ci_u32_e32 v8, vcc_lo, s3, v1, vcc_lo
	s_delay_alu instid0(VALU_DEP_3) | instskip(SKIP_1) | instid1(VALU_DEP_3)
	v_cmp_gt_i64_e32 vcc_lo, 0, v[5:6]
	v_cmp_lt_i64_e64 s2, v[2:3], v[0:1]
	v_cmp_lt_i64_e64 s3, -1, v[7:8]
	s_delay_alu instid0(VALU_DEP_2) | instskip(NEXT) | instid1(SALU_CYCLE_1)
	s_or_b32 s2, vcc_lo, s2
	s_xor_b32 s4, s2, -1
	s_mov_b32 s2, -1
	s_delay_alu instid0(VALU_DEP_1) | instskip(NEXT) | instid1(SALU_CYCLE_1)
	s_and_b32 s3, s3, s4
	s_and_saveexec_b32 s19, s3
	s_cbranch_execz .LBB10_61
; %bb.2:
	v_mov_b32_e32 v15, 3
	s_mov_b32 s2, 0
	s_mov_b32 s20, exec_lo
	v_cmpx_lt_i64_e64 v[0:1], v[2:3]
	s_cbranch_execz .LBB10_60
; %bb.3:
	s_clause 0x1
	s_load_b128 s[12:15], s[0:1], 0x18
	s_load_b256 s[4:11], s[0:1], 0x30
	s_cmp_lg_u32 s16, 0
	s_mov_b32 s17, 0
	s_cselect_b32 s21, -1, 0
                                        ; implicit-def: $sgpr27
                                        ; implicit-def: $sgpr28
                                        ; implicit-def: $sgpr29
	s_waitcnt lgkmcnt(0)
	s_mul_hi_i32 s3, s13, s12
	s_mul_i32 s2, s13, s12
	v_mul_lo_u32 v2, s3, v7
	v_mul_lo_u32 v3, s2, v8
	v_mad_u64_u32 v[0:1], null, s2, v7, 0
	s_cmp_gt_i32 s13, 0
	s_cselect_b32 s22, -1, 0
	s_cmp_gt_i32 s12, 0
	s_cselect_b32 s23, -1, 0
	s_delay_alu instid0(VALU_DEP_1) | instskip(SKIP_3) | instid1(VALU_DEP_1)
	v_add3_u32 v1, v1, v3, v2
	s_cmp_lg_u32 s9, 0
	s_cselect_b32 s9, -1, 0
	s_cmp_lg_u32 s10, 0
	v_lshlrev_b64 v[0:1], 3, v[0:1]
	s_cselect_b32 s24, -1, 0
	s_cmp_lg_u32 s11, 0
	s_cselect_b32 s25, -1, 0
	s_add_u32 s26, s6, -4
	s_delay_alu instid0(VALU_DEP_1)
	v_add_co_u32 v11, vcc_lo, s14, v0
	v_add_co_ci_u32_e32 v12, vcc_lo, s15, v1, vcc_lo
	v_dual_mov_b32 v0, v7 :: v_dual_mov_b32 v1, v8
	s_addc_u32 s14, s7, -1
	s_lshl_b64 s[6:7], s[2:3], 3
	s_mov_b32 s15, 0
	s_branch .LBB10_9
.LBB10_4:                               ;   in Loop: Header=BB10_9 Depth=1
	s_or_b32 exec_lo, exec_lo, s35
	s_delay_alu instid0(SALU_CYCLE_1)
	s_and_not1_b32 s11, s11, exec_lo
	s_and_b32 s3, s3, exec_lo
	s_or_not1_b32 s2, s2, exec_lo
	s_or_b32 s11, s11, s3
.LBB10_5:                               ;   in Loop: Header=BB10_9 Depth=1
	s_or_b32 exec_lo, exec_lo, s16
	s_delay_alu instid0(SALU_CYCLE_1)
	s_and_not1_b32 s3, s33, exec_lo
	s_and_b32 s11, s11, exec_lo
	s_or_not1_b32 s2, s2, exec_lo
	s_or_b32 s33, s3, s11
.LBB10_6:                               ;   in Loop: Header=BB10_9 Depth=1
	s_or_b32 exec_lo, exec_lo, s10
	s_delay_alu instid0(SALU_CYCLE_1)
	s_or_not1_b32 s3, s33, exec_lo
	s_or_not1_b32 s2, s2, exec_lo
.LBB10_7:                               ;   in Loop: Header=BB10_9 Depth=1
	s_or_b32 exec_lo, exec_lo, s31
	s_delay_alu instid0(SALU_CYCLE_1)
	s_and_not1_b32 s10, s29, exec_lo
	s_and_b32 s3, s3, exec_lo
	s_and_not1_b32 s11, s28, exec_lo
	s_and_b32 s2, s2, exec_lo
	s_or_b32 s29, s10, s3
	s_or_b32 s28, s11, s2
.LBB10_8:                               ;   in Loop: Header=BB10_9 Depth=1
	s_or_b32 exec_lo, exec_lo, s30
	s_delay_alu instid0(SALU_CYCLE_1) | instskip(NEXT) | instid1(SALU_CYCLE_1)
	s_and_b32 s2, exec_lo, s28
	s_or_b32 s15, s2, s15
	s_and_not1_b32 s2, s27, exec_lo
	s_and_b32 s3, s29, exec_lo
	s_delay_alu instid0(SALU_CYCLE_1)
	s_or_b32 s27, s2, s3
	s_and_not1_b32 exec_lo, exec_lo, s15
	s_cbranch_execz .LBB10_59
.LBB10_9:                               ; =>This Loop Header: Depth=1
                                        ;     Child Loop BB10_34 Depth 2
                                        ;       Child Loop BB10_38 Depth 3
                                        ;     Child Loop BB10_17 Depth 2
                                        ;       Child Loop BB10_21 Depth 3
	v_lshlrev_b64 v[9:10], 2, v[0:1]
	v_mov_b32_e32 v15, 4
	s_or_b32 s29, s29, exec_lo
	s_or_b32 s28, s28, exec_lo
	s_delay_alu instid0(VALU_DEP_2) | instskip(NEXT) | instid1(VALU_DEP_3)
	v_add_co_u32 v2, vcc_lo, s4, v9
	v_add_co_ci_u32_e32 v3, vcc_lo, s5, v10, vcc_lo
	global_load_b32 v13, v[2:3], off
	s_waitcnt vmcnt(0)
	v_subrev_nc_u32_e32 v14, s8, v13
	s_delay_alu instid0(VALU_DEP_1) | instskip(SKIP_1) | instid1(VALU_DEP_1)
	v_cmp_lt_i32_e32 vcc_lo, -1, v14
	v_cmp_gt_i32_e64 s2, s18, v14
	s_and_b32 s2, vcc_lo, s2
	s_delay_alu instid0(SALU_CYCLE_1)
	s_and_saveexec_b32 s30, s2
	s_cbranch_execz .LBB10_8
; %bb.10:                               ;   in Loop: Header=BB10_9 Depth=1
	v_cmp_le_i64_e64 s34, v[0:1], v[7:8]
	v_mov_b32_e32 v15, 4
	s_mov_b32 s10, exec_lo
	s_delay_alu instid0(VALU_DEP_2)
	s_mov_b32 s11, s34
	v_cmpx_gt_i64_e64 v[0:1], v[7:8]
	s_cbranch_execz .LBB10_12
; %bb.11:                               ;   in Loop: Header=BB10_9 Depth=1
	v_add_co_u32 v9, vcc_lo, s26, v9
	v_add_co_ci_u32_e32 v10, vcc_lo, s14, v10, vcc_lo
	global_load_b64 v[9:10], v[9:10], off
	s_waitcnt vmcnt(0)
	v_subrev_nc_u32_e32 v15, s8, v9
	v_cmp_ne_u32_e64 s3, v10, v9
	s_delay_alu instid0(VALU_DEP_2) | instskip(SKIP_2) | instid1(VALU_DEP_2)
	v_cmp_lt_i32_e32 vcc_lo, -1, v15
	v_cmp_gt_i32_e64 s2, s18, v15
	v_mov_b32_e32 v15, 5
	s_and_b32 s2, vcc_lo, s2
	s_delay_alu instid0(SALU_CYCLE_1) | instskip(NEXT) | instid1(SALU_CYCLE_1)
	s_xor_b32 s2, s2, -1
	s_or_b32 s2, s3, s2
	s_and_not1_b32 s3, s34, exec_lo
	s_and_b32 s2, s2, exec_lo
	s_delay_alu instid0(SALU_CYCLE_1)
	s_or_b32 s11, s3, s2
.LBB10_12:                              ;   in Loop: Header=BB10_9 Depth=1
	s_or_b32 exec_lo, exec_lo, s10
	s_mov_b32 s2, -1
	s_mov_b32 s3, -1
	s_and_saveexec_b32 s31, s11
	s_cbranch_execz .LBB10_7
; %bb.13:                               ;   in Loop: Header=BB10_9 Depth=1
	s_and_b32 vcc_lo, exec_lo, s21
	s_cbranch_vccz .LBB10_29
; %bb.14:                               ;   in Loop: Header=BB10_9 Depth=1
	s_and_b32 vcc_lo, exec_lo, s22
	s_cbranch_vccz .LBB10_30
; %bb.15:                               ;   in Loop: Header=BB10_9 Depth=1
	s_mov_b32 s35, 0
	s_mov_b32 s36, 0
	;; [unrolled: 1-line block ×3, first 2 shown]
                                        ; implicit-def: $sgpr3
                                        ; implicit-def: $sgpr33
                                        ; implicit-def: $sgpr37
	s_branch .LBB10_17
.LBB10_16:                              ;   in Loop: Header=BB10_17 Depth=2
	s_or_b32 exec_lo, exec_lo, s2
	s_xor_b32 s2, s39, -1
	s_and_b32 s10, exec_lo, s38
	s_delay_alu instid0(SALU_CYCLE_1)
	s_or_b32 s35, s10, s35
	s_and_not1_b32 s10, s33, exec_lo
	s_and_b32 s11, s37, exec_lo
	s_and_not1_b32 s3, s3, exec_lo
	s_and_b32 s2, s2, exec_lo
	s_or_b32 s33, s10, s11
	s_or_b32 s3, s3, s2
	s_and_not1_b32 exec_lo, exec_lo, s35
	s_cbranch_execz .LBB10_28
.LBB10_17:                              ;   Parent Loop BB10_9 Depth=1
                                        ; =>  This Loop Header: Depth=2
                                        ;       Child Loop BB10_21 Depth 3
	s_and_not1_b32 vcc_lo, exec_lo, s23
	s_mov_b32 s38, -1
	s_cbranch_vccnz .LBB10_25
; %bb.18:                               ;   in Loop: Header=BB10_17 Depth=2
	s_lshl_b64 s[10:11], s[16:17], 3
	s_mov_b32 s41, 0
	s_mov_b32 s42, s12
                                        ; implicit-def: $sgpr40
                                        ; implicit-def: $sgpr39
                                        ; implicit-def: $sgpr43
                                        ; implicit-def: $sgpr44
	s_branch .LBB10_21
.LBB10_19:                              ;   in Loop: Header=BB10_21 Depth=3
	s_or_b32 exec_lo, exec_lo, s48
	v_mov_b32_e32 v15, 2
	s_and_not1_b32 s44, s44, exec_lo
	s_and_b32 s2, s2, exec_lo
	s_and_not1_b32 s43, s43, exec_lo
	s_and_b32 s47, s47, exec_lo
	s_or_b32 s44, s44, s2
	s_or_b32 s43, s43, s47
.LBB10_20:                              ;   in Loop: Header=BB10_21 Depth=3
	s_or_b32 exec_lo, exec_lo, s46
	s_xor_b32 s2, s44, -1
	s_and_b32 s46, exec_lo, s43
	s_delay_alu instid0(SALU_CYCLE_1)
	s_or_b32 s41, s46, s41
	s_and_not1_b32 s39, s39, exec_lo
	s_and_b32 s45, s45, exec_lo
	s_and_not1_b32 s40, s40, exec_lo
	s_and_b32 s2, s2, exec_lo
	s_or_b32 s39, s39, s45
	s_or_b32 s40, s40, s2
	s_and_not1_b32 exec_lo, exec_lo, s41
	s_cbranch_execz .LBB10_24
.LBB10_21:                              ;   Parent Loop BB10_9 Depth=1
                                        ;     Parent Loop BB10_17 Depth=2
                                        ; =>    This Inner Loop Header: Depth=3
	v_add_co_u32 v9, vcc_lo, v11, s10
	v_add_co_ci_u32_e32 v10, vcc_lo, s11, v12, vcc_lo
	v_mov_b32_e32 v15, 1
	s_mov_b32 s45, -1
	s_or_b32 s44, s44, exec_lo
	global_load_b64 v[9:10], v[9:10], off
	s_or_b32 s43, s43, exec_lo
	s_waitcnt vmcnt(0)
	v_cmp_neq_f32_e32 vcc_lo, 0x7f800000, v9
	v_cmp_neq_f32_e64 s2, 0x7f800000, v10
	s_delay_alu instid0(VALU_DEP_1) | instskip(NEXT) | instid1(SALU_CYCLE_1)
	s_and_b32 s2, vcc_lo, s2
	s_and_saveexec_b32 s46, s2
	s_delay_alu instid0(SALU_CYCLE_1)
	s_xor_b32 s46, exec_lo, s46
	s_cbranch_execz .LBB10_20
; %bb.22:                               ;   in Loop: Header=BB10_21 Depth=3
	v_cmp_o_f32_e32 vcc_lo, v9, v9
	v_cmp_o_f32_e64 s2, v10, v10
	s_mov_b32 s47, -1
	s_delay_alu instid0(VALU_DEP_1)
	s_and_b32 s49, vcc_lo, s2
	s_mov_b32 s2, -1
	s_and_saveexec_b32 s48, s49
	s_cbranch_execz .LBB10_19
; %bb.23:                               ;   in Loop: Header=BB10_21 Depth=3
	s_add_i32 s42, s42, -1
	s_add_u32 s10, s10, 8
	s_addc_u32 s11, s11, 0
	s_cmp_eq_u32 s42, 0
	s_cselect_b32 s47, -1, 0
	s_xor_b32 s2, exec_lo, -1
	s_or_not1_b32 s47, s47, exec_lo
	s_branch .LBB10_19
.LBB10_24:                              ;   in Loop: Header=BB10_17 Depth=2
	s_or_b32 exec_lo, exec_lo, s41
	s_branch .LBB10_26
.LBB10_25:                              ;   in Loop: Header=BB10_17 Depth=2
	s_mov_b32 s40, -1
                                        ; implicit-def: $sgpr39
                                        ; implicit-def: $vgpr15
.LBB10_26:                              ;   in Loop: Header=BB10_17 Depth=2
	s_and_not1_b32 s2, s37, exec_lo
	s_and_b32 s10, s39, exec_lo
	s_delay_alu instid0(SALU_CYCLE_1)
	s_or_b32 s37, s2, s10
	s_and_saveexec_b32 s2, s40
	s_cbranch_execz .LBB10_16
; %bb.27:                               ;   in Loop: Header=BB10_17 Depth=2
	s_add_i32 s36, s36, 1
	s_add_i32 s16, s16, s12
	s_cmp_eq_u32 s36, s13
                                        ; implicit-def: $vgpr15
	s_cselect_b32 s10, -1, 0
	s_and_not1_b32 s39, s39, exec_lo
	s_and_not1_b32 s37, s37, exec_lo
	s_or_not1_b32 s38, s10, exec_lo
	s_branch .LBB10_16
.LBB10_28:                              ;   in Loop: Header=BB10_9 Depth=1
	s_or_b32 exec_lo, exec_lo, s35
	s_branch .LBB10_46
.LBB10_29:                              ;   in Loop: Header=BB10_9 Depth=1
	s_mov_b32 s3, 0
	s_mov_b32 s33, -1
	s_and_b32 vcc_lo, exec_lo, s2
	s_cbranch_vccnz .LBB10_31
	s_branch .LBB10_46
.LBB10_30:                              ;   in Loop: Header=BB10_9 Depth=1
	s_mov_b32 s33, -1
	s_branch .LBB10_46
.LBB10_31:                              ;   in Loop: Header=BB10_9 Depth=1
	s_and_b32 vcc_lo, exec_lo, s23
	s_cbranch_vccz .LBB10_50
; %bb.32:                               ;   in Loop: Header=BB10_9 Depth=1
	s_mov_b32 s35, 0
	s_mov_b32 s36, 0
	;; [unrolled: 1-line block ×3, first 2 shown]
                                        ; implicit-def: $sgpr3
                                        ; implicit-def: $sgpr33
                                        ; implicit-def: $sgpr37
	s_branch .LBB10_34
.LBB10_33:                              ;   in Loop: Header=BB10_34 Depth=2
	s_or_b32 exec_lo, exec_lo, s2
	s_xor_b32 s2, s39, -1
	s_and_b32 s10, exec_lo, s38
	s_delay_alu instid0(SALU_CYCLE_1)
	s_or_b32 s35, s10, s35
	s_and_not1_b32 s10, s33, exec_lo
	s_and_b32 s11, s37, exec_lo
	s_and_not1_b32 s3, s3, exec_lo
	s_and_b32 s2, s2, exec_lo
	s_or_b32 s33, s10, s11
	s_or_b32 s3, s3, s2
	s_and_not1_b32 exec_lo, exec_lo, s35
	s_cbranch_execz .LBB10_45
.LBB10_34:                              ;   Parent Loop BB10_9 Depth=1
                                        ; =>  This Loop Header: Depth=2
                                        ;       Child Loop BB10_38 Depth 3
	s_and_not1_b32 vcc_lo, exec_lo, s22
	s_mov_b32 s38, -1
	s_cbranch_vccnz .LBB10_42
; %bb.35:                               ;   in Loop: Header=BB10_34 Depth=2
	s_lshl_b64 s[10:11], s[16:17], 3
	s_mov_b32 s41, 0
	s_mov_b32 s42, s13
                                        ; implicit-def: $sgpr40
                                        ; implicit-def: $sgpr39
                                        ; implicit-def: $sgpr43
                                        ; implicit-def: $sgpr44
	s_branch .LBB10_38
.LBB10_36:                              ;   in Loop: Header=BB10_38 Depth=3
	s_or_b32 exec_lo, exec_lo, s48
	v_mov_b32_e32 v15, 2
	s_and_not1_b32 s44, s44, exec_lo
	s_and_b32 s2, s2, exec_lo
	s_and_not1_b32 s43, s43, exec_lo
	s_and_b32 s47, s47, exec_lo
	s_or_b32 s44, s44, s2
	s_or_b32 s43, s43, s47
.LBB10_37:                              ;   in Loop: Header=BB10_38 Depth=3
	s_or_b32 exec_lo, exec_lo, s46
	s_xor_b32 s2, s44, -1
	s_and_b32 s46, exec_lo, s43
	s_delay_alu instid0(SALU_CYCLE_1)
	s_or_b32 s41, s46, s41
	s_and_not1_b32 s39, s39, exec_lo
	s_and_b32 s45, s45, exec_lo
	s_and_not1_b32 s40, s40, exec_lo
	s_and_b32 s2, s2, exec_lo
	s_or_b32 s39, s39, s45
	s_or_b32 s40, s40, s2
	s_and_not1_b32 exec_lo, exec_lo, s41
	s_cbranch_execz .LBB10_41
.LBB10_38:                              ;   Parent Loop BB10_9 Depth=1
                                        ;     Parent Loop BB10_34 Depth=2
                                        ; =>    This Inner Loop Header: Depth=3
	v_add_co_u32 v9, vcc_lo, v11, s10
	v_add_co_ci_u32_e32 v10, vcc_lo, s11, v12, vcc_lo
	v_mov_b32_e32 v15, 1
	s_mov_b32 s45, -1
	s_or_b32 s44, s44, exec_lo
	global_load_b64 v[9:10], v[9:10], off
	s_or_b32 s43, s43, exec_lo
	s_waitcnt vmcnt(0)
	v_cmp_neq_f32_e32 vcc_lo, 0x7f800000, v9
	v_cmp_neq_f32_e64 s2, 0x7f800000, v10
	s_delay_alu instid0(VALU_DEP_1) | instskip(NEXT) | instid1(SALU_CYCLE_1)
	s_and_b32 s2, vcc_lo, s2
	s_and_saveexec_b32 s46, s2
	s_delay_alu instid0(SALU_CYCLE_1)
	s_xor_b32 s46, exec_lo, s46
	s_cbranch_execz .LBB10_37
; %bb.39:                               ;   in Loop: Header=BB10_38 Depth=3
	v_cmp_o_f32_e32 vcc_lo, v9, v9
	v_cmp_o_f32_e64 s2, v10, v10
	s_mov_b32 s47, -1
	s_delay_alu instid0(VALU_DEP_1)
	s_and_b32 s49, vcc_lo, s2
	s_mov_b32 s2, -1
	s_and_saveexec_b32 s48, s49
	s_cbranch_execz .LBB10_36
; %bb.40:                               ;   in Loop: Header=BB10_38 Depth=3
	s_add_i32 s42, s42, -1
	s_add_u32 s10, s10, 8
	s_addc_u32 s11, s11, 0
	s_cmp_eq_u32 s42, 0
	s_cselect_b32 s47, -1, 0
	s_xor_b32 s2, exec_lo, -1
	s_or_not1_b32 s47, s47, exec_lo
	s_branch .LBB10_36
.LBB10_41:                              ;   in Loop: Header=BB10_34 Depth=2
	s_or_b32 exec_lo, exec_lo, s41
	s_branch .LBB10_43
.LBB10_42:                              ;   in Loop: Header=BB10_34 Depth=2
	s_mov_b32 s40, -1
                                        ; implicit-def: $sgpr39
                                        ; implicit-def: $vgpr15
.LBB10_43:                              ;   in Loop: Header=BB10_34 Depth=2
	s_and_not1_b32 s2, s37, exec_lo
	s_and_b32 s10, s39, exec_lo
	s_delay_alu instid0(SALU_CYCLE_1)
	s_or_b32 s37, s2, s10
	s_and_saveexec_b32 s2, s40
	s_cbranch_execz .LBB10_33
; %bb.44:                               ;   in Loop: Header=BB10_34 Depth=2
	s_add_i32 s36, s36, 1
	s_add_i32 s16, s16, s13
	s_cmp_eq_u32 s36, s12
                                        ; implicit-def: $vgpr15
	s_cselect_b32 s10, -1, 0
	s_and_not1_b32 s39, s39, exec_lo
	s_and_not1_b32 s37, s37, exec_lo
	s_or_not1_b32 s38, s10, exec_lo
	s_branch .LBB10_33
.LBB10_45:                              ;   in Loop: Header=BB10_9 Depth=1
	s_or_b32 exec_lo, exec_lo, s35
.LBB10_46:                              ;   in Loop: Header=BB10_9 Depth=1
	s_mov_b32 s2, -1
	s_and_saveexec_b32 s10, s3
	s_cbranch_execz .LBB10_6
.LBB10_47:                              ;   in Loop: Header=BB10_9 Depth=1
	s_and_b32 vcc_lo, exec_lo, s9
	s_cbranch_vccz .LBB10_51
; %bb.48:                               ;   in Loop: Header=BB10_9 Depth=1
	s_and_b32 vcc_lo, exec_lo, s24
	s_cbranch_vccz .LBB10_52
; %bb.49:                               ;   in Loop: Header=BB10_9 Depth=1
	v_cmp_le_u32_e32 vcc_lo, v4, v14
	v_mov_b32_e32 v15, 7
	s_or_b32 s11, s33, exec_lo
	s_and_b32 s3, vcc_lo, exec_lo
	s_cbranch_execz .LBB10_53
	s_branch .LBB10_54
.LBB10_50:                              ;   in Loop: Header=BB10_9 Depth=1
	s_mov_b32 s3, -1
	s_mov_b32 s2, -1
	s_and_saveexec_b32 s10, s3
	s_cbranch_execz .LBB10_6
	s_branch .LBB10_47
.LBB10_51:                              ;   in Loop: Header=BB10_9 Depth=1
	s_mov_b32 s3, -1
	s_mov_b32 s11, s33
	s_branch .LBB10_54
.LBB10_52:                              ;   in Loop: Header=BB10_9 Depth=1
	s_mov_b32 s3, 0
	s_mov_b32 s11, s33
.LBB10_53:                              ;   in Loop: Header=BB10_9 Depth=1
	v_cmp_ge_u32_e32 vcc_lo, v4, v14
	v_mov_b32_e32 v15, 7
	s_and_not1_b32 s3, s3, exec_lo
	s_or_b32 s11, s11, exec_lo
	s_and_b32 s16, vcc_lo, exec_lo
	s_delay_alu instid0(SALU_CYCLE_1)
	s_or_b32 s3, s3, s16
.LBB10_54:                              ;   in Loop: Header=BB10_9 Depth=1
	s_delay_alu instid0(SALU_CYCLE_1)
	s_and_saveexec_b32 s16, s3
	s_cbranch_execz .LBB10_5
; %bb.55:                               ;   in Loop: Header=BB10_9 Depth=1
	s_or_b32 s34, s25, s34
	s_mov_b32 s3, s11
	s_xor_b32 s2, s34, -1
	s_delay_alu instid0(SALU_CYCLE_1)
	s_and_saveexec_b32 s35, s2
	s_cbranch_execz .LBB10_57
; %bb.56:                               ;   in Loop: Header=BB10_9 Depth=1
	global_load_b32 v2, v[2:3], off offset:-4
	v_mov_b32_e32 v15, 6
	s_and_not1_b32 s34, s34, exec_lo
	s_waitcnt vmcnt(0)
	v_subrev_nc_u32_e32 v3, s8, v2
	v_cmp_gt_i32_e64 s3, v13, v2
	s_delay_alu instid0(VALU_DEP_2) | instskip(SKIP_1) | instid1(VALU_DEP_1)
	v_cmp_lt_i32_e32 vcc_lo, -1, v3
	v_cmp_gt_i32_e64 s2, s18, v3
	s_and_b32 s2, vcc_lo, s2
	s_delay_alu instid0(SALU_CYCLE_1) | instskip(NEXT) | instid1(SALU_CYCLE_1)
	s_xor_b32 s2, s2, -1
	s_or_b32 s2, s3, s2
	s_or_b32 s3, s11, exec_lo
	s_and_b32 s2, s2, exec_lo
	s_delay_alu instid0(SALU_CYCLE_1)
	s_or_b32 s34, s34, s2
.LBB10_57:                              ;   in Loop: Header=BB10_9 Depth=1
	s_or_b32 exec_lo, exec_lo, s35
	s_mov_b32 s2, -1
	s_and_saveexec_b32 s35, s34
	s_cbranch_execz .LBB10_4
; %bb.58:                               ;   in Loop: Header=BB10_9 Depth=1
	v_add_co_u32 v0, vcc_lo, v0, 1
	v_add_co_ci_u32_e32 v1, vcc_lo, 0, v1, vcc_lo
	v_add_co_u32 v11, s2, v11, s6
	s_delay_alu instid0(VALU_DEP_1) | instskip(NEXT) | instid1(VALU_DEP_3)
	v_add_co_ci_u32_e64 v12, s2, s7, v12, s2
	v_cmp_ge_i64_e32 vcc_lo, v[0:1], v[5:6]
	s_and_not1_b32 s3, s3, exec_lo
                                        ; implicit-def: $vgpr15
	s_or_not1_b32 s2, vcc_lo, exec_lo
	s_branch .LBB10_4
.LBB10_59:
	s_or_b32 exec_lo, exec_lo, s15
	s_delay_alu instid0(SALU_CYCLE_1)
	s_and_b32 s2, s27, exec_lo
.LBB10_60:
	s_or_b32 exec_lo, exec_lo, s20
	s_delay_alu instid0(SALU_CYCLE_1)
	s_or_not1_b32 s2, s2, exec_lo
.LBB10_61:
	s_or_b32 exec_lo, exec_lo, s19
	s_delay_alu instid0(SALU_CYCLE_1)
	s_and_b32 exec_lo, exec_lo, s2
	s_cbranch_execz .LBB10_63
; %bb.62:
	s_load_b64 s[0:1], s[0:1], 0x50
	v_mov_b32_e32 v0, 0
	s_waitcnt lgkmcnt(0)
	global_store_b32 v0, v15, s[0:1]
.LBB10_63:
	s_nop 0
	s_sendmsg sendmsg(MSG_DEALLOC_VGPRS)
	s_endpgm
	.section	.rodata,"a",@progbits
	.p2align	6, 0x0
	.amdhsa_kernel _ZN9rocsparseL25check_matrix_gebsr_deviceILj256E21rocsparse_complex_numIfEliEEv20rocsparse_direction_T2_S4_T1_S4_S4_PKT0_PKS5_PKS4_SC_21rocsparse_index_base_22rocsparse_matrix_type_20rocsparse_fill_mode_23rocsparse_storage_mode_P22rocsparse_data_status_
		.amdhsa_group_segment_fixed_size 0
		.amdhsa_private_segment_fixed_size 0
		.amdhsa_kernarg_size 88
		.amdhsa_user_sgpr_count 15
		.amdhsa_user_sgpr_dispatch_ptr 0
		.amdhsa_user_sgpr_queue_ptr 0
		.amdhsa_user_sgpr_kernarg_segment_ptr 1
		.amdhsa_user_sgpr_dispatch_id 0
		.amdhsa_user_sgpr_private_segment_size 0
		.amdhsa_wavefront_size32 1
		.amdhsa_uses_dynamic_stack 0
		.amdhsa_enable_private_segment 0
		.amdhsa_system_sgpr_workgroup_id_x 1
		.amdhsa_system_sgpr_workgroup_id_y 0
		.amdhsa_system_sgpr_workgroup_id_z 0
		.amdhsa_system_sgpr_workgroup_info 0
		.amdhsa_system_vgpr_workitem_id 0
		.amdhsa_next_free_vgpr 16
		.amdhsa_next_free_sgpr 50
		.amdhsa_reserve_vcc 1
		.amdhsa_float_round_mode_32 0
		.amdhsa_float_round_mode_16_64 0
		.amdhsa_float_denorm_mode_32 3
		.amdhsa_float_denorm_mode_16_64 3
		.amdhsa_dx10_clamp 1
		.amdhsa_ieee_mode 1
		.amdhsa_fp16_overflow 0
		.amdhsa_workgroup_processor_mode 1
		.amdhsa_memory_ordered 1
		.amdhsa_forward_progress 0
		.amdhsa_shared_vgpr_count 0
		.amdhsa_exception_fp_ieee_invalid_op 0
		.amdhsa_exception_fp_denorm_src 0
		.amdhsa_exception_fp_ieee_div_zero 0
		.amdhsa_exception_fp_ieee_overflow 0
		.amdhsa_exception_fp_ieee_underflow 0
		.amdhsa_exception_fp_ieee_inexact 0
		.amdhsa_exception_int_div_zero 0
	.end_amdhsa_kernel
	.section	.text._ZN9rocsparseL25check_matrix_gebsr_deviceILj256E21rocsparse_complex_numIfEliEEv20rocsparse_direction_T2_S4_T1_S4_S4_PKT0_PKS5_PKS4_SC_21rocsparse_index_base_22rocsparse_matrix_type_20rocsparse_fill_mode_23rocsparse_storage_mode_P22rocsparse_data_status_,"axG",@progbits,_ZN9rocsparseL25check_matrix_gebsr_deviceILj256E21rocsparse_complex_numIfEliEEv20rocsparse_direction_T2_S4_T1_S4_S4_PKT0_PKS5_PKS4_SC_21rocsparse_index_base_22rocsparse_matrix_type_20rocsparse_fill_mode_23rocsparse_storage_mode_P22rocsparse_data_status_,comdat
.Lfunc_end10:
	.size	_ZN9rocsparseL25check_matrix_gebsr_deviceILj256E21rocsparse_complex_numIfEliEEv20rocsparse_direction_T2_S4_T1_S4_S4_PKT0_PKS5_PKS4_SC_21rocsparse_index_base_22rocsparse_matrix_type_20rocsparse_fill_mode_23rocsparse_storage_mode_P22rocsparse_data_status_, .Lfunc_end10-_ZN9rocsparseL25check_matrix_gebsr_deviceILj256E21rocsparse_complex_numIfEliEEv20rocsparse_direction_T2_S4_T1_S4_S4_PKT0_PKS5_PKS4_SC_21rocsparse_index_base_22rocsparse_matrix_type_20rocsparse_fill_mode_23rocsparse_storage_mode_P22rocsparse_data_status_
                                        ; -- End function
	.section	.AMDGPU.csdata,"",@progbits
; Kernel info:
; codeLenInByte = 1988
; NumSgprs: 52
; NumVgprs: 16
; ScratchSize: 0
; MemoryBound: 0
; FloatMode: 240
; IeeeMode: 1
; LDSByteSize: 0 bytes/workgroup (compile time only)
; SGPRBlocks: 6
; VGPRBlocks: 1
; NumSGPRsForWavesPerEU: 52
; NumVGPRsForWavesPerEU: 16
; Occupancy: 16
; WaveLimiterHint : 0
; COMPUTE_PGM_RSRC2:SCRATCH_EN: 0
; COMPUTE_PGM_RSRC2:USER_SGPR: 15
; COMPUTE_PGM_RSRC2:TRAP_HANDLER: 0
; COMPUTE_PGM_RSRC2:TGID_X_EN: 1
; COMPUTE_PGM_RSRC2:TGID_Y_EN: 0
; COMPUTE_PGM_RSRC2:TGID_Z_EN: 0
; COMPUTE_PGM_RSRC2:TIDIG_COMP_CNT: 0
	.section	.text._ZN9rocsparseL25check_matrix_gebsr_deviceILj256E21rocsparse_complex_numIdEliEEv20rocsparse_direction_T2_S4_T1_S4_S4_PKT0_PKS5_PKS4_SC_21rocsparse_index_base_22rocsparse_matrix_type_20rocsparse_fill_mode_23rocsparse_storage_mode_P22rocsparse_data_status_,"axG",@progbits,_ZN9rocsparseL25check_matrix_gebsr_deviceILj256E21rocsparse_complex_numIdEliEEv20rocsparse_direction_T2_S4_T1_S4_S4_PKT0_PKS5_PKS4_SC_21rocsparse_index_base_22rocsparse_matrix_type_20rocsparse_fill_mode_23rocsparse_storage_mode_P22rocsparse_data_status_,comdat
	.globl	_ZN9rocsparseL25check_matrix_gebsr_deviceILj256E21rocsparse_complex_numIdEliEEv20rocsparse_direction_T2_S4_T1_S4_S4_PKT0_PKS5_PKS4_SC_21rocsparse_index_base_22rocsparse_matrix_type_20rocsparse_fill_mode_23rocsparse_storage_mode_P22rocsparse_data_status_ ; -- Begin function _ZN9rocsparseL25check_matrix_gebsr_deviceILj256E21rocsparse_complex_numIdEliEEv20rocsparse_direction_T2_S4_T1_S4_S4_PKT0_PKS5_PKS4_SC_21rocsparse_index_base_22rocsparse_matrix_type_20rocsparse_fill_mode_23rocsparse_storage_mode_P22rocsparse_data_status_
	.p2align	8
	.type	_ZN9rocsparseL25check_matrix_gebsr_deviceILj256E21rocsparse_complex_numIdEliEEv20rocsparse_direction_T2_S4_T1_S4_S4_PKT0_PKS5_PKS4_SC_21rocsparse_index_base_22rocsparse_matrix_type_20rocsparse_fill_mode_23rocsparse_storage_mode_P22rocsparse_data_status_,@function
_ZN9rocsparseL25check_matrix_gebsr_deviceILj256E21rocsparse_complex_numIdEliEEv20rocsparse_direction_T2_S4_T1_S4_S4_PKT0_PKS5_PKS4_SC_21rocsparse_index_base_22rocsparse_matrix_type_20rocsparse_fill_mode_23rocsparse_storage_mode_P22rocsparse_data_status_: ; @_ZN9rocsparseL25check_matrix_gebsr_deviceILj256E21rocsparse_complex_numIdEliEEv20rocsparse_direction_T2_S4_T1_S4_S4_PKT0_PKS5_PKS4_SC_21rocsparse_index_base_22rocsparse_matrix_type_20rocsparse_fill_mode_23rocsparse_storage_mode_P22rocsparse_data_status_
; %bb.0:
	s_load_b128 s[16:19], s[0:1], 0x0
	v_mov_b32_e32 v5, 0
	v_lshl_or_b32 v4, s15, 8, v0
	s_waitcnt lgkmcnt(0)
	s_ashr_i32 s3, s17, 31
	s_mov_b32 s2, s17
	s_delay_alu instid0(VALU_DEP_1) | instid1(SALU_CYCLE_1)
	v_cmp_gt_i64_e32 vcc_lo, s[2:3], v[4:5]
	s_and_saveexec_b32 s2, vcc_lo
	s_cbranch_execz .LBB11_63
; %bb.1:
	s_load_b64 s[2:3], s[0:1], 0x28
	v_lshlrev_b64 v[0:1], 3, v[4:5]
	v_mov_b32_e32 v17, 3
	s_waitcnt lgkmcnt(0)
	s_delay_alu instid0(VALU_DEP_2) | instskip(NEXT) | instid1(VALU_DEP_3)
	v_add_co_u32 v0, vcc_lo, s2, v0
	v_add_co_ci_u32_e32 v1, vcc_lo, s3, v1, vcc_lo
	s_load_b64 s[2:3], s[2:3], 0x0
	global_load_b128 v[0:3], v[0:1], off
	s_waitcnt vmcnt(0) lgkmcnt(0)
	v_sub_co_u32 v5, vcc_lo, v2, s2
	v_subrev_co_ci_u32_e32 v6, vcc_lo, s3, v3, vcc_lo
	v_sub_co_u32 v7, vcc_lo, v0, s2
	v_subrev_co_ci_u32_e32 v8, vcc_lo, s3, v1, vcc_lo
	s_delay_alu instid0(VALU_DEP_3) | instskip(SKIP_1) | instid1(VALU_DEP_3)
	v_cmp_gt_i64_e32 vcc_lo, 0, v[5:6]
	v_cmp_lt_i64_e64 s2, v[2:3], v[0:1]
	v_cmp_lt_i64_e64 s3, -1, v[7:8]
	s_delay_alu instid0(VALU_DEP_2) | instskip(NEXT) | instid1(SALU_CYCLE_1)
	s_or_b32 s2, vcc_lo, s2
	s_xor_b32 s4, s2, -1
	s_mov_b32 s2, -1
	s_delay_alu instid0(VALU_DEP_1) | instskip(NEXT) | instid1(SALU_CYCLE_1)
	s_and_b32 s3, s3, s4
	s_and_saveexec_b32 s19, s3
	s_cbranch_execz .LBB11_61
; %bb.2:
	v_mov_b32_e32 v17, 3
	s_mov_b32 s2, 0
	s_mov_b32 s20, exec_lo
	v_cmpx_lt_i64_e64 v[0:1], v[2:3]
	s_cbranch_execz .LBB11_60
; %bb.3:
	s_clause 0x1
	s_load_b128 s[12:15], s[0:1], 0x18
	s_load_b256 s[4:11], s[0:1], 0x30
	s_cmp_lg_u32 s16, 0
	v_dual_mov_b32 v10, v8 :: v_dual_mov_b32 v9, v7
	s_cselect_b32 s21, -1, 0
	s_mov_b32 s17, 0
                                        ; implicit-def: $sgpr27
                                        ; implicit-def: $sgpr28
                                        ; implicit-def: $sgpr29
	s_waitcnt lgkmcnt(0)
	s_mul_hi_i32 s3, s13, s12
	s_mul_i32 s2, s13, s12
	v_mul_lo_u32 v2, s3, v7
	v_mul_lo_u32 v3, s2, v8
	v_mad_u64_u32 v[0:1], null, s2, v7, 0
	s_cmp_gt_i32 s13, 0
	s_cselect_b32 s22, -1, 0
	s_cmp_gt_i32 s12, 0
	s_cselect_b32 s23, -1, 0
	s_delay_alu instid0(VALU_DEP_1) | instskip(SKIP_3) | instid1(VALU_DEP_1)
	v_add3_u32 v1, v1, v3, v2
	s_cmp_lg_u32 s9, 0
	s_cselect_b32 s9, -1, 0
	s_cmp_lg_u32 s10, 0
	v_lshlrev_b64 v[0:1], 4, v[0:1]
	s_cselect_b32 s24, -1, 0
	s_cmp_lg_u32 s11, 0
	s_cselect_b32 s25, -1, 0
	s_add_u32 s26, s6, -4
	s_delay_alu instid0(VALU_DEP_1)
	v_add_co_u32 v13, vcc_lo, s14, v0
	v_add_co_ci_u32_e32 v14, vcc_lo, s15, v1, vcc_lo
	s_addc_u32 s14, s7, -1
	s_lshl_b64 s[6:7], s[2:3], 4
	s_mov_b32 s15, 0
	s_branch .LBB11_9
.LBB11_4:                               ;   in Loop: Header=BB11_9 Depth=1
	s_or_b32 exec_lo, exec_lo, s35
	s_delay_alu instid0(SALU_CYCLE_1)
	s_and_not1_b32 s11, s11, exec_lo
	s_and_b32 s3, s3, exec_lo
	s_or_not1_b32 s2, s2, exec_lo
	s_or_b32 s11, s11, s3
.LBB11_5:                               ;   in Loop: Header=BB11_9 Depth=1
	s_or_b32 exec_lo, exec_lo, s16
	s_delay_alu instid0(SALU_CYCLE_1)
	s_and_not1_b32 s3, s33, exec_lo
	s_and_b32 s11, s11, exec_lo
	s_or_not1_b32 s2, s2, exec_lo
	s_or_b32 s33, s3, s11
.LBB11_6:                               ;   in Loop: Header=BB11_9 Depth=1
	s_or_b32 exec_lo, exec_lo, s10
	s_delay_alu instid0(SALU_CYCLE_1)
	s_or_not1_b32 s3, s33, exec_lo
	s_or_not1_b32 s2, s2, exec_lo
.LBB11_7:                               ;   in Loop: Header=BB11_9 Depth=1
	s_or_b32 exec_lo, exec_lo, s31
	s_delay_alu instid0(SALU_CYCLE_1)
	s_and_not1_b32 s10, s29, exec_lo
	s_and_b32 s3, s3, exec_lo
	s_and_not1_b32 s11, s28, exec_lo
	s_and_b32 s2, s2, exec_lo
	s_or_b32 s29, s10, s3
	s_or_b32 s28, s11, s2
.LBB11_8:                               ;   in Loop: Header=BB11_9 Depth=1
	s_or_b32 exec_lo, exec_lo, s30
	s_delay_alu instid0(SALU_CYCLE_1) | instskip(NEXT) | instid1(SALU_CYCLE_1)
	s_and_b32 s2, exec_lo, s28
	s_or_b32 s15, s2, s15
	s_and_not1_b32 s2, s27, exec_lo
	s_and_b32 s3, s29, exec_lo
	s_delay_alu instid0(SALU_CYCLE_1)
	s_or_b32 s27, s2, s3
	s_and_not1_b32 exec_lo, exec_lo, s15
	s_cbranch_execz .LBB11_59
.LBB11_9:                               ; =>This Loop Header: Depth=1
                                        ;     Child Loop BB11_34 Depth 2
                                        ;       Child Loop BB11_38 Depth 3
                                        ;     Child Loop BB11_17 Depth 2
                                        ;       Child Loop BB11_21 Depth 3
	v_lshlrev_b64 v[0:1], 2, v[9:10]
	v_mov_b32_e32 v17, 4
	s_or_b32 s29, s29, exec_lo
	s_or_b32 s28, s28, exec_lo
	s_delay_alu instid0(VALU_DEP_2) | instskip(NEXT) | instid1(VALU_DEP_3)
	v_add_co_u32 v11, vcc_lo, s4, v0
	v_add_co_ci_u32_e32 v12, vcc_lo, s5, v1, vcc_lo
	global_load_b32 v15, v[11:12], off
	s_waitcnt vmcnt(0)
	v_subrev_nc_u32_e32 v16, s8, v15
	s_delay_alu instid0(VALU_DEP_1) | instskip(SKIP_1) | instid1(VALU_DEP_1)
	v_cmp_lt_i32_e32 vcc_lo, -1, v16
	v_cmp_gt_i32_e64 s2, s18, v16
	s_and_b32 s2, vcc_lo, s2
	s_delay_alu instid0(SALU_CYCLE_1)
	s_and_saveexec_b32 s30, s2
	s_cbranch_execz .LBB11_8
; %bb.10:                               ;   in Loop: Header=BB11_9 Depth=1
	v_cmp_le_i64_e64 s34, v[9:10], v[7:8]
	v_mov_b32_e32 v17, 4
	s_mov_b32 s10, exec_lo
	s_delay_alu instid0(VALU_DEP_2)
	s_mov_b32 s11, s34
	v_cmpx_gt_i64_e64 v[9:10], v[7:8]
	s_cbranch_execz .LBB11_12
; %bb.11:                               ;   in Loop: Header=BB11_9 Depth=1
	v_add_co_u32 v0, vcc_lo, s26, v0
	v_add_co_ci_u32_e32 v1, vcc_lo, s14, v1, vcc_lo
	v_mov_b32_e32 v17, 5
	global_load_b64 v[0:1], v[0:1], off
	s_waitcnt vmcnt(0)
	v_subrev_nc_u32_e32 v2, s8, v0
	v_cmp_ne_u32_e64 s3, v1, v0
	s_delay_alu instid0(VALU_DEP_2) | instskip(SKIP_1) | instid1(VALU_DEP_1)
	v_cmp_lt_i32_e32 vcc_lo, -1, v2
	v_cmp_gt_i32_e64 s2, s18, v2
	s_and_b32 s2, vcc_lo, s2
	s_delay_alu instid0(SALU_CYCLE_1) | instskip(NEXT) | instid1(SALU_CYCLE_1)
	s_xor_b32 s2, s2, -1
	s_or_b32 s2, s3, s2
	s_and_not1_b32 s3, s34, exec_lo
	s_and_b32 s2, s2, exec_lo
	s_delay_alu instid0(SALU_CYCLE_1)
	s_or_b32 s11, s3, s2
.LBB11_12:                              ;   in Loop: Header=BB11_9 Depth=1
	s_or_b32 exec_lo, exec_lo, s10
	s_mov_b32 s2, -1
	s_mov_b32 s3, -1
	s_and_saveexec_b32 s31, s11
	s_cbranch_execz .LBB11_7
; %bb.13:                               ;   in Loop: Header=BB11_9 Depth=1
	s_and_b32 vcc_lo, exec_lo, s21
	s_cbranch_vccz .LBB11_29
; %bb.14:                               ;   in Loop: Header=BB11_9 Depth=1
	s_and_b32 vcc_lo, exec_lo, s22
	s_cbranch_vccz .LBB11_30
; %bb.15:                               ;   in Loop: Header=BB11_9 Depth=1
	s_mov_b32 s35, 0
	s_mov_b32 s36, 0
	;; [unrolled: 1-line block ×3, first 2 shown]
                                        ; implicit-def: $sgpr3
                                        ; implicit-def: $sgpr33
                                        ; implicit-def: $sgpr37
	s_branch .LBB11_17
.LBB11_16:                              ;   in Loop: Header=BB11_17 Depth=2
	s_or_b32 exec_lo, exec_lo, s2
	s_xor_b32 s2, s39, -1
	s_and_b32 s10, exec_lo, s38
	s_delay_alu instid0(SALU_CYCLE_1)
	s_or_b32 s35, s10, s35
	s_and_not1_b32 s10, s33, exec_lo
	s_and_b32 s11, s37, exec_lo
	s_and_not1_b32 s3, s3, exec_lo
	s_and_b32 s2, s2, exec_lo
	s_or_b32 s33, s10, s11
	s_or_b32 s3, s3, s2
	s_and_not1_b32 exec_lo, exec_lo, s35
	s_cbranch_execz .LBB11_28
.LBB11_17:                              ;   Parent Loop BB11_9 Depth=1
                                        ; =>  This Loop Header: Depth=2
                                        ;       Child Loop BB11_21 Depth 3
	s_and_not1_b32 vcc_lo, exec_lo, s23
	s_mov_b32 s38, -1
	s_cbranch_vccnz .LBB11_25
; %bb.18:                               ;   in Loop: Header=BB11_17 Depth=2
	s_lshl_b64 s[10:11], s[16:17], 4
	s_mov_b32 s41, 0
	s_mov_b32 s42, s12
                                        ; implicit-def: $sgpr40
                                        ; implicit-def: $sgpr39
                                        ; implicit-def: $sgpr43
                                        ; implicit-def: $sgpr44
	s_branch .LBB11_21
.LBB11_19:                              ;   in Loop: Header=BB11_21 Depth=3
	s_or_b32 exec_lo, exec_lo, s48
	v_mov_b32_e32 v17, 2
	s_and_not1_b32 s44, s44, exec_lo
	s_and_b32 s2, s2, exec_lo
	s_and_not1_b32 s43, s43, exec_lo
	s_and_b32 s47, s47, exec_lo
	s_or_b32 s44, s44, s2
	s_or_b32 s43, s43, s47
.LBB11_20:                              ;   in Loop: Header=BB11_21 Depth=3
	s_or_b32 exec_lo, exec_lo, s46
	s_xor_b32 s2, s44, -1
	s_and_b32 s46, exec_lo, s43
	s_delay_alu instid0(SALU_CYCLE_1)
	s_or_b32 s41, s46, s41
	s_and_not1_b32 s39, s39, exec_lo
	s_and_b32 s45, s45, exec_lo
	s_and_not1_b32 s40, s40, exec_lo
	s_and_b32 s2, s2, exec_lo
	s_or_b32 s39, s39, s45
	s_or_b32 s40, s40, s2
	s_and_not1_b32 exec_lo, exec_lo, s41
	s_cbranch_execz .LBB11_24
.LBB11_21:                              ;   Parent Loop BB11_9 Depth=1
                                        ;     Parent Loop BB11_17 Depth=2
                                        ; =>    This Inner Loop Header: Depth=3
	v_add_co_u32 v0, vcc_lo, v13, s10
	v_add_co_ci_u32_e32 v1, vcc_lo, s11, v14, vcc_lo
	v_mov_b32_e32 v17, 1
	s_mov_b32 s45, -1
	s_or_b32 s44, s44, exec_lo
	global_load_b128 v[0:3], v[0:1], off
	s_or_b32 s43, s43, exec_lo
	s_waitcnt vmcnt(0)
	v_cmp_neq_f64_e32 vcc_lo, 0x7ff00000, v[0:1]
	v_cmp_neq_f64_e64 s2, 0x7ff00000, v[2:3]
	s_delay_alu instid0(VALU_DEP_1) | instskip(NEXT) | instid1(SALU_CYCLE_1)
	s_and_b32 s2, vcc_lo, s2
	s_and_saveexec_b32 s46, s2
	s_delay_alu instid0(SALU_CYCLE_1)
	s_xor_b32 s46, exec_lo, s46
	s_cbranch_execz .LBB11_20
; %bb.22:                               ;   in Loop: Header=BB11_21 Depth=3
	v_cmp_o_f64_e32 vcc_lo, v[0:1], v[0:1]
	v_cmp_o_f64_e64 s2, v[2:3], v[2:3]
	s_mov_b32 s47, -1
	s_delay_alu instid0(VALU_DEP_1)
	s_and_b32 s49, vcc_lo, s2
	s_mov_b32 s2, -1
	s_and_saveexec_b32 s48, s49
	s_cbranch_execz .LBB11_19
; %bb.23:                               ;   in Loop: Header=BB11_21 Depth=3
	s_add_i32 s42, s42, -1
	s_add_u32 s10, s10, 16
	s_addc_u32 s11, s11, 0
	s_cmp_eq_u32 s42, 0
	s_cselect_b32 s47, -1, 0
	s_xor_b32 s2, exec_lo, -1
	s_or_not1_b32 s47, s47, exec_lo
	s_branch .LBB11_19
.LBB11_24:                              ;   in Loop: Header=BB11_17 Depth=2
	s_or_b32 exec_lo, exec_lo, s41
	s_branch .LBB11_26
.LBB11_25:                              ;   in Loop: Header=BB11_17 Depth=2
	s_mov_b32 s40, -1
                                        ; implicit-def: $sgpr39
                                        ; implicit-def: $vgpr17
.LBB11_26:                              ;   in Loop: Header=BB11_17 Depth=2
	s_and_not1_b32 s2, s37, exec_lo
	s_and_b32 s10, s39, exec_lo
	s_delay_alu instid0(SALU_CYCLE_1)
	s_or_b32 s37, s2, s10
	s_and_saveexec_b32 s2, s40
	s_cbranch_execz .LBB11_16
; %bb.27:                               ;   in Loop: Header=BB11_17 Depth=2
	s_add_i32 s36, s36, 1
	s_add_i32 s16, s16, s12
	s_cmp_eq_u32 s36, s13
                                        ; implicit-def: $vgpr17
	s_cselect_b32 s10, -1, 0
	s_and_not1_b32 s39, s39, exec_lo
	s_and_not1_b32 s37, s37, exec_lo
	s_or_not1_b32 s38, s10, exec_lo
	s_branch .LBB11_16
.LBB11_28:                              ;   in Loop: Header=BB11_9 Depth=1
	s_or_b32 exec_lo, exec_lo, s35
	s_branch .LBB11_46
.LBB11_29:                              ;   in Loop: Header=BB11_9 Depth=1
	s_mov_b32 s3, 0
	s_mov_b32 s33, -1
	s_and_b32 vcc_lo, exec_lo, s2
	s_cbranch_vccnz .LBB11_31
	s_branch .LBB11_46
.LBB11_30:                              ;   in Loop: Header=BB11_9 Depth=1
	s_mov_b32 s33, -1
	s_branch .LBB11_46
.LBB11_31:                              ;   in Loop: Header=BB11_9 Depth=1
	s_and_b32 vcc_lo, exec_lo, s23
	s_cbranch_vccz .LBB11_50
; %bb.32:                               ;   in Loop: Header=BB11_9 Depth=1
	s_mov_b32 s35, 0
	s_mov_b32 s36, 0
	;; [unrolled: 1-line block ×3, first 2 shown]
                                        ; implicit-def: $sgpr3
                                        ; implicit-def: $sgpr33
                                        ; implicit-def: $sgpr37
	s_branch .LBB11_34
.LBB11_33:                              ;   in Loop: Header=BB11_34 Depth=2
	s_or_b32 exec_lo, exec_lo, s2
	s_xor_b32 s2, s39, -1
	s_and_b32 s10, exec_lo, s38
	s_delay_alu instid0(SALU_CYCLE_1)
	s_or_b32 s35, s10, s35
	s_and_not1_b32 s10, s33, exec_lo
	s_and_b32 s11, s37, exec_lo
	s_and_not1_b32 s3, s3, exec_lo
	s_and_b32 s2, s2, exec_lo
	s_or_b32 s33, s10, s11
	s_or_b32 s3, s3, s2
	s_and_not1_b32 exec_lo, exec_lo, s35
	s_cbranch_execz .LBB11_45
.LBB11_34:                              ;   Parent Loop BB11_9 Depth=1
                                        ; =>  This Loop Header: Depth=2
                                        ;       Child Loop BB11_38 Depth 3
	s_and_not1_b32 vcc_lo, exec_lo, s22
	s_mov_b32 s38, -1
	s_cbranch_vccnz .LBB11_42
; %bb.35:                               ;   in Loop: Header=BB11_34 Depth=2
	s_lshl_b64 s[10:11], s[16:17], 4
	s_mov_b32 s41, 0
	s_mov_b32 s42, s13
                                        ; implicit-def: $sgpr40
                                        ; implicit-def: $sgpr39
                                        ; implicit-def: $sgpr43
                                        ; implicit-def: $sgpr44
	s_branch .LBB11_38
.LBB11_36:                              ;   in Loop: Header=BB11_38 Depth=3
	s_or_b32 exec_lo, exec_lo, s48
	v_mov_b32_e32 v17, 2
	s_and_not1_b32 s44, s44, exec_lo
	s_and_b32 s2, s2, exec_lo
	s_and_not1_b32 s43, s43, exec_lo
	s_and_b32 s47, s47, exec_lo
	s_or_b32 s44, s44, s2
	s_or_b32 s43, s43, s47
.LBB11_37:                              ;   in Loop: Header=BB11_38 Depth=3
	s_or_b32 exec_lo, exec_lo, s46
	s_xor_b32 s2, s44, -1
	s_and_b32 s46, exec_lo, s43
	s_delay_alu instid0(SALU_CYCLE_1)
	s_or_b32 s41, s46, s41
	s_and_not1_b32 s39, s39, exec_lo
	s_and_b32 s45, s45, exec_lo
	s_and_not1_b32 s40, s40, exec_lo
	s_and_b32 s2, s2, exec_lo
	s_or_b32 s39, s39, s45
	s_or_b32 s40, s40, s2
	s_and_not1_b32 exec_lo, exec_lo, s41
	s_cbranch_execz .LBB11_41
.LBB11_38:                              ;   Parent Loop BB11_9 Depth=1
                                        ;     Parent Loop BB11_34 Depth=2
                                        ; =>    This Inner Loop Header: Depth=3
	v_add_co_u32 v0, vcc_lo, v13, s10
	v_add_co_ci_u32_e32 v1, vcc_lo, s11, v14, vcc_lo
	v_mov_b32_e32 v17, 1
	s_mov_b32 s45, -1
	s_or_b32 s44, s44, exec_lo
	global_load_b128 v[0:3], v[0:1], off
	s_or_b32 s43, s43, exec_lo
	s_waitcnt vmcnt(0)
	v_cmp_neq_f64_e32 vcc_lo, 0x7ff00000, v[0:1]
	v_cmp_neq_f64_e64 s2, 0x7ff00000, v[2:3]
	s_delay_alu instid0(VALU_DEP_1) | instskip(NEXT) | instid1(SALU_CYCLE_1)
	s_and_b32 s2, vcc_lo, s2
	s_and_saveexec_b32 s46, s2
	s_delay_alu instid0(SALU_CYCLE_1)
	s_xor_b32 s46, exec_lo, s46
	s_cbranch_execz .LBB11_37
; %bb.39:                               ;   in Loop: Header=BB11_38 Depth=3
	v_cmp_o_f64_e32 vcc_lo, v[0:1], v[0:1]
	v_cmp_o_f64_e64 s2, v[2:3], v[2:3]
	s_mov_b32 s47, -1
	s_delay_alu instid0(VALU_DEP_1)
	s_and_b32 s49, vcc_lo, s2
	s_mov_b32 s2, -1
	s_and_saveexec_b32 s48, s49
	s_cbranch_execz .LBB11_36
; %bb.40:                               ;   in Loop: Header=BB11_38 Depth=3
	s_add_i32 s42, s42, -1
	s_add_u32 s10, s10, 16
	s_addc_u32 s11, s11, 0
	s_cmp_eq_u32 s42, 0
	s_cselect_b32 s47, -1, 0
	s_xor_b32 s2, exec_lo, -1
	s_or_not1_b32 s47, s47, exec_lo
	s_branch .LBB11_36
.LBB11_41:                              ;   in Loop: Header=BB11_34 Depth=2
	s_or_b32 exec_lo, exec_lo, s41
	s_branch .LBB11_43
.LBB11_42:                              ;   in Loop: Header=BB11_34 Depth=2
	s_mov_b32 s40, -1
                                        ; implicit-def: $sgpr39
                                        ; implicit-def: $vgpr17
.LBB11_43:                              ;   in Loop: Header=BB11_34 Depth=2
	s_and_not1_b32 s2, s37, exec_lo
	s_and_b32 s10, s39, exec_lo
	s_delay_alu instid0(SALU_CYCLE_1)
	s_or_b32 s37, s2, s10
	s_and_saveexec_b32 s2, s40
	s_cbranch_execz .LBB11_33
; %bb.44:                               ;   in Loop: Header=BB11_34 Depth=2
	s_add_i32 s36, s36, 1
	s_add_i32 s16, s16, s13
	s_cmp_eq_u32 s36, s12
                                        ; implicit-def: $vgpr17
	s_cselect_b32 s10, -1, 0
	s_and_not1_b32 s39, s39, exec_lo
	s_and_not1_b32 s37, s37, exec_lo
	s_or_not1_b32 s38, s10, exec_lo
	s_branch .LBB11_33
.LBB11_45:                              ;   in Loop: Header=BB11_9 Depth=1
	s_or_b32 exec_lo, exec_lo, s35
.LBB11_46:                              ;   in Loop: Header=BB11_9 Depth=1
	s_mov_b32 s2, -1
	s_and_saveexec_b32 s10, s3
	s_cbranch_execz .LBB11_6
.LBB11_47:                              ;   in Loop: Header=BB11_9 Depth=1
	s_and_b32 vcc_lo, exec_lo, s9
	s_cbranch_vccz .LBB11_51
; %bb.48:                               ;   in Loop: Header=BB11_9 Depth=1
	s_and_b32 vcc_lo, exec_lo, s24
	s_cbranch_vccz .LBB11_52
; %bb.49:                               ;   in Loop: Header=BB11_9 Depth=1
	v_cmp_le_u32_e32 vcc_lo, v4, v16
	v_mov_b32_e32 v17, 7
	s_or_b32 s11, s33, exec_lo
	s_and_b32 s3, vcc_lo, exec_lo
	s_cbranch_execz .LBB11_53
	s_branch .LBB11_54
.LBB11_50:                              ;   in Loop: Header=BB11_9 Depth=1
	s_mov_b32 s3, -1
	s_mov_b32 s2, -1
	s_and_saveexec_b32 s10, s3
	s_cbranch_execz .LBB11_6
	s_branch .LBB11_47
.LBB11_51:                              ;   in Loop: Header=BB11_9 Depth=1
	s_mov_b32 s3, -1
	s_mov_b32 s11, s33
	s_branch .LBB11_54
.LBB11_52:                              ;   in Loop: Header=BB11_9 Depth=1
	s_mov_b32 s3, 0
	s_mov_b32 s11, s33
.LBB11_53:                              ;   in Loop: Header=BB11_9 Depth=1
	v_cmp_ge_u32_e32 vcc_lo, v4, v16
	v_mov_b32_e32 v17, 7
	s_and_not1_b32 s3, s3, exec_lo
	s_or_b32 s11, s11, exec_lo
	s_and_b32 s16, vcc_lo, exec_lo
	s_delay_alu instid0(SALU_CYCLE_1)
	s_or_b32 s3, s3, s16
.LBB11_54:                              ;   in Loop: Header=BB11_9 Depth=1
	s_delay_alu instid0(SALU_CYCLE_1)
	s_and_saveexec_b32 s16, s3
	s_cbranch_execz .LBB11_5
; %bb.55:                               ;   in Loop: Header=BB11_9 Depth=1
	s_or_b32 s34, s25, s34
	s_mov_b32 s3, s11
	s_xor_b32 s2, s34, -1
	s_delay_alu instid0(SALU_CYCLE_1)
	s_and_saveexec_b32 s35, s2
	s_cbranch_execz .LBB11_57
; %bb.56:                               ;   in Loop: Header=BB11_9 Depth=1
	global_load_b32 v0, v[11:12], off offset:-4
	v_mov_b32_e32 v17, 6
	s_and_not1_b32 s34, s34, exec_lo
	s_waitcnt vmcnt(0)
	v_subrev_nc_u32_e32 v1, s8, v0
	v_cmp_gt_i32_e64 s3, v15, v0
	s_delay_alu instid0(VALU_DEP_2) | instskip(SKIP_1) | instid1(VALU_DEP_1)
	v_cmp_lt_i32_e32 vcc_lo, -1, v1
	v_cmp_gt_i32_e64 s2, s18, v1
	s_and_b32 s2, vcc_lo, s2
	s_delay_alu instid0(SALU_CYCLE_1) | instskip(NEXT) | instid1(SALU_CYCLE_1)
	s_xor_b32 s2, s2, -1
	s_or_b32 s2, s3, s2
	s_or_b32 s3, s11, exec_lo
	s_and_b32 s2, s2, exec_lo
	s_delay_alu instid0(SALU_CYCLE_1)
	s_or_b32 s34, s34, s2
.LBB11_57:                              ;   in Loop: Header=BB11_9 Depth=1
	s_or_b32 exec_lo, exec_lo, s35
	s_mov_b32 s2, -1
	s_and_saveexec_b32 s35, s34
	s_cbranch_execz .LBB11_4
; %bb.58:                               ;   in Loop: Header=BB11_9 Depth=1
	v_add_co_u32 v9, vcc_lo, v9, 1
	v_add_co_ci_u32_e32 v10, vcc_lo, 0, v10, vcc_lo
	v_add_co_u32 v13, s2, v13, s6
	s_delay_alu instid0(VALU_DEP_1) | instskip(NEXT) | instid1(VALU_DEP_3)
	v_add_co_ci_u32_e64 v14, s2, s7, v14, s2
	v_cmp_ge_i64_e32 vcc_lo, v[9:10], v[5:6]
	s_and_not1_b32 s3, s3, exec_lo
                                        ; implicit-def: $vgpr17
	s_or_not1_b32 s2, vcc_lo, exec_lo
	s_branch .LBB11_4
.LBB11_59:
	s_or_b32 exec_lo, exec_lo, s15
	s_delay_alu instid0(SALU_CYCLE_1)
	s_and_b32 s2, s27, exec_lo
.LBB11_60:
	s_or_b32 exec_lo, exec_lo, s20
	s_delay_alu instid0(SALU_CYCLE_1)
	s_or_not1_b32 s2, s2, exec_lo
.LBB11_61:
	s_or_b32 exec_lo, exec_lo, s19
	s_delay_alu instid0(SALU_CYCLE_1)
	s_and_b32 exec_lo, exec_lo, s2
	s_cbranch_execz .LBB11_63
; %bb.62:
	s_load_b64 s[0:1], s[0:1], 0x50
	v_mov_b32_e32 v0, 0
	s_waitcnt lgkmcnt(0)
	global_store_b32 v0, v17, s[0:1]
.LBB11_63:
	s_nop 0
	s_sendmsg sendmsg(MSG_DEALLOC_VGPRS)
	s_endpgm
	.section	.rodata,"a",@progbits
	.p2align	6, 0x0
	.amdhsa_kernel _ZN9rocsparseL25check_matrix_gebsr_deviceILj256E21rocsparse_complex_numIdEliEEv20rocsparse_direction_T2_S4_T1_S4_S4_PKT0_PKS5_PKS4_SC_21rocsparse_index_base_22rocsparse_matrix_type_20rocsparse_fill_mode_23rocsparse_storage_mode_P22rocsparse_data_status_
		.amdhsa_group_segment_fixed_size 0
		.amdhsa_private_segment_fixed_size 0
		.amdhsa_kernarg_size 88
		.amdhsa_user_sgpr_count 15
		.amdhsa_user_sgpr_dispatch_ptr 0
		.amdhsa_user_sgpr_queue_ptr 0
		.amdhsa_user_sgpr_kernarg_segment_ptr 1
		.amdhsa_user_sgpr_dispatch_id 0
		.amdhsa_user_sgpr_private_segment_size 0
		.amdhsa_wavefront_size32 1
		.amdhsa_uses_dynamic_stack 0
		.amdhsa_enable_private_segment 0
		.amdhsa_system_sgpr_workgroup_id_x 1
		.amdhsa_system_sgpr_workgroup_id_y 0
		.amdhsa_system_sgpr_workgroup_id_z 0
		.amdhsa_system_sgpr_workgroup_info 0
		.amdhsa_system_vgpr_workitem_id 0
		.amdhsa_next_free_vgpr 18
		.amdhsa_next_free_sgpr 50
		.amdhsa_reserve_vcc 1
		.amdhsa_float_round_mode_32 0
		.amdhsa_float_round_mode_16_64 0
		.amdhsa_float_denorm_mode_32 3
		.amdhsa_float_denorm_mode_16_64 3
		.amdhsa_dx10_clamp 1
		.amdhsa_ieee_mode 1
		.amdhsa_fp16_overflow 0
		.amdhsa_workgroup_processor_mode 1
		.amdhsa_memory_ordered 1
		.amdhsa_forward_progress 0
		.amdhsa_shared_vgpr_count 0
		.amdhsa_exception_fp_ieee_invalid_op 0
		.amdhsa_exception_fp_denorm_src 0
		.amdhsa_exception_fp_ieee_div_zero 0
		.amdhsa_exception_fp_ieee_overflow 0
		.amdhsa_exception_fp_ieee_underflow 0
		.amdhsa_exception_fp_ieee_inexact 0
		.amdhsa_exception_int_div_zero 0
	.end_amdhsa_kernel
	.section	.text._ZN9rocsparseL25check_matrix_gebsr_deviceILj256E21rocsparse_complex_numIdEliEEv20rocsparse_direction_T2_S4_T1_S4_S4_PKT0_PKS5_PKS4_SC_21rocsparse_index_base_22rocsparse_matrix_type_20rocsparse_fill_mode_23rocsparse_storage_mode_P22rocsparse_data_status_,"axG",@progbits,_ZN9rocsparseL25check_matrix_gebsr_deviceILj256E21rocsparse_complex_numIdEliEEv20rocsparse_direction_T2_S4_T1_S4_S4_PKT0_PKS5_PKS4_SC_21rocsparse_index_base_22rocsparse_matrix_type_20rocsparse_fill_mode_23rocsparse_storage_mode_P22rocsparse_data_status_,comdat
.Lfunc_end11:
	.size	_ZN9rocsparseL25check_matrix_gebsr_deviceILj256E21rocsparse_complex_numIdEliEEv20rocsparse_direction_T2_S4_T1_S4_S4_PKT0_PKS5_PKS4_SC_21rocsparse_index_base_22rocsparse_matrix_type_20rocsparse_fill_mode_23rocsparse_storage_mode_P22rocsparse_data_status_, .Lfunc_end11-_ZN9rocsparseL25check_matrix_gebsr_deviceILj256E21rocsparse_complex_numIdEliEEv20rocsparse_direction_T2_S4_T1_S4_S4_PKT0_PKS5_PKS4_SC_21rocsparse_index_base_22rocsparse_matrix_type_20rocsparse_fill_mode_23rocsparse_storage_mode_P22rocsparse_data_status_
                                        ; -- End function
	.section	.AMDGPU.csdata,"",@progbits
; Kernel info:
; codeLenInByte = 1988
; NumSgprs: 52
; NumVgprs: 18
; ScratchSize: 0
; MemoryBound: 0
; FloatMode: 240
; IeeeMode: 1
; LDSByteSize: 0 bytes/workgroup (compile time only)
; SGPRBlocks: 6
; VGPRBlocks: 2
; NumSGPRsForWavesPerEU: 52
; NumVGPRsForWavesPerEU: 18
; Occupancy: 16
; WaveLimiterHint : 0
; COMPUTE_PGM_RSRC2:SCRATCH_EN: 0
; COMPUTE_PGM_RSRC2:USER_SGPR: 15
; COMPUTE_PGM_RSRC2:TRAP_HANDLER: 0
; COMPUTE_PGM_RSRC2:TGID_X_EN: 1
; COMPUTE_PGM_RSRC2:TGID_Y_EN: 0
; COMPUTE_PGM_RSRC2:TGID_Z_EN: 0
; COMPUTE_PGM_RSRC2:TIDIG_COMP_CNT: 0
	.section	.text._ZN9rocsparseL19check_row_ptr_arrayILj256EllEEvT1_PKT0_P22rocsparse_data_status_,"axG",@progbits,_ZN9rocsparseL19check_row_ptr_arrayILj256EllEEvT1_PKT0_P22rocsparse_data_status_,comdat
	.globl	_ZN9rocsparseL19check_row_ptr_arrayILj256EllEEvT1_PKT0_P22rocsparse_data_status_ ; -- Begin function _ZN9rocsparseL19check_row_ptr_arrayILj256EllEEvT1_PKT0_P22rocsparse_data_status_
	.p2align	8
	.type	_ZN9rocsparseL19check_row_ptr_arrayILj256EllEEvT1_PKT0_P22rocsparse_data_status_,@function
_ZN9rocsparseL19check_row_ptr_arrayILj256EllEEvT1_PKT0_P22rocsparse_data_status_: ; @_ZN9rocsparseL19check_row_ptr_arrayILj256EllEEvT1_PKT0_P22rocsparse_data_status_
; %bb.0:
	s_load_b64 s[2:3], s[0:1], 0x0
	v_lshl_or_b32 v0, s15, 8, v0
	v_mov_b32_e32 v1, 0
	s_waitcnt lgkmcnt(0)
	s_delay_alu instid0(VALU_DEP_1)
	v_cmp_gt_i64_e32 vcc_lo, s[2:3], v[0:1]
	s_and_saveexec_b32 s2, vcc_lo
	s_cbranch_execz .LBB12_3
; %bb.1:
	s_load_b64 s[2:3], s[0:1], 0x8
	v_lshlrev_b64 v[0:1], 3, v[0:1]
	s_waitcnt lgkmcnt(0)
	s_delay_alu instid0(VALU_DEP_1) | instskip(NEXT) | instid1(VALU_DEP_2)
	v_add_co_u32 v0, vcc_lo, s2, v0
	v_add_co_ci_u32_e32 v1, vcc_lo, s3, v1, vcc_lo
	s_load_b64 s[4:5], s[2:3], 0x0
	global_load_b128 v[0:3], v[0:1], off
	s_waitcnt vmcnt(0) lgkmcnt(0)
	v_cmp_gt_i64_e32 vcc_lo, s[4:5], v[2:3]
	v_cmp_lt_i64_e64 s2, v[2:3], v[0:1]
	v_cmp_gt_i64_e64 s3, s[4:5], v[0:1]
	s_delay_alu instid0(VALU_DEP_2)
	s_or_b32 s2, vcc_lo, s2
	s_delay_alu instid0(VALU_DEP_1) | instid1(SALU_CYCLE_1)
	s_or_b32 s2, s3, s2
	s_delay_alu instid0(SALU_CYCLE_1)
	s_and_b32 exec_lo, exec_lo, s2
	s_cbranch_execz .LBB12_3
; %bb.2:
	s_load_b64 s[0:1], s[0:1], 0x10
	v_dual_mov_b32 v0, 0 :: v_dual_mov_b32 v1, 3
	s_waitcnt lgkmcnt(0)
	global_store_b32 v0, v1, s[0:1]
.LBB12_3:
	s_nop 0
	s_sendmsg sendmsg(MSG_DEALLOC_VGPRS)
	s_endpgm
	.section	.rodata,"a",@progbits
	.p2align	6, 0x0
	.amdhsa_kernel _ZN9rocsparseL19check_row_ptr_arrayILj256EllEEvT1_PKT0_P22rocsparse_data_status_
		.amdhsa_group_segment_fixed_size 0
		.amdhsa_private_segment_fixed_size 0
		.amdhsa_kernarg_size 24
		.amdhsa_user_sgpr_count 15
		.amdhsa_user_sgpr_dispatch_ptr 0
		.amdhsa_user_sgpr_queue_ptr 0
		.amdhsa_user_sgpr_kernarg_segment_ptr 1
		.amdhsa_user_sgpr_dispatch_id 0
		.amdhsa_user_sgpr_private_segment_size 0
		.amdhsa_wavefront_size32 1
		.amdhsa_uses_dynamic_stack 0
		.amdhsa_enable_private_segment 0
		.amdhsa_system_sgpr_workgroup_id_x 1
		.amdhsa_system_sgpr_workgroup_id_y 0
		.amdhsa_system_sgpr_workgroup_id_z 0
		.amdhsa_system_sgpr_workgroup_info 0
		.amdhsa_system_vgpr_workitem_id 0
		.amdhsa_next_free_vgpr 4
		.amdhsa_next_free_sgpr 16
		.amdhsa_reserve_vcc 1
		.amdhsa_float_round_mode_32 0
		.amdhsa_float_round_mode_16_64 0
		.amdhsa_float_denorm_mode_32 3
		.amdhsa_float_denorm_mode_16_64 3
		.amdhsa_dx10_clamp 1
		.amdhsa_ieee_mode 1
		.amdhsa_fp16_overflow 0
		.amdhsa_workgroup_processor_mode 1
		.amdhsa_memory_ordered 1
		.amdhsa_forward_progress 0
		.amdhsa_shared_vgpr_count 0
		.amdhsa_exception_fp_ieee_invalid_op 0
		.amdhsa_exception_fp_denorm_src 0
		.amdhsa_exception_fp_ieee_div_zero 0
		.amdhsa_exception_fp_ieee_overflow 0
		.amdhsa_exception_fp_ieee_underflow 0
		.amdhsa_exception_fp_ieee_inexact 0
		.amdhsa_exception_int_div_zero 0
	.end_amdhsa_kernel
	.section	.text._ZN9rocsparseL19check_row_ptr_arrayILj256EllEEvT1_PKT0_P22rocsparse_data_status_,"axG",@progbits,_ZN9rocsparseL19check_row_ptr_arrayILj256EllEEvT1_PKT0_P22rocsparse_data_status_,comdat
.Lfunc_end12:
	.size	_ZN9rocsparseL19check_row_ptr_arrayILj256EllEEvT1_PKT0_P22rocsparse_data_status_, .Lfunc_end12-_ZN9rocsparseL19check_row_ptr_arrayILj256EllEEvT1_PKT0_P22rocsparse_data_status_
                                        ; -- End function
	.section	.AMDGPU.csdata,"",@progbits
; Kernel info:
; codeLenInByte = 184
; NumSgprs: 18
; NumVgprs: 4
; ScratchSize: 0
; MemoryBound: 0
; FloatMode: 240
; IeeeMode: 1
; LDSByteSize: 0 bytes/workgroup (compile time only)
; SGPRBlocks: 2
; VGPRBlocks: 0
; NumSGPRsForWavesPerEU: 18
; NumVGPRsForWavesPerEU: 4
; Occupancy: 16
; WaveLimiterHint : 0
; COMPUTE_PGM_RSRC2:SCRATCH_EN: 0
; COMPUTE_PGM_RSRC2:USER_SGPR: 15
; COMPUTE_PGM_RSRC2:TRAP_HANDLER: 0
; COMPUTE_PGM_RSRC2:TGID_X_EN: 1
; COMPUTE_PGM_RSRC2:TGID_Y_EN: 0
; COMPUTE_PGM_RSRC2:TGID_Z_EN: 0
; COMPUTE_PGM_RSRC2:TIDIG_COMP_CNT: 0
	.section	.text._ZN9rocsparseL20shift_offsets_kernelILj512EllEEvT1_PKT0_PS2_,"axG",@progbits,_ZN9rocsparseL20shift_offsets_kernelILj512EllEEvT1_PKT0_PS2_,comdat
	.globl	_ZN9rocsparseL20shift_offsets_kernelILj512EllEEvT1_PKT0_PS2_ ; -- Begin function _ZN9rocsparseL20shift_offsets_kernelILj512EllEEvT1_PKT0_PS2_
	.p2align	8
	.type	_ZN9rocsparseL20shift_offsets_kernelILj512EllEEvT1_PKT0_PS2_,@function
_ZN9rocsparseL20shift_offsets_kernelILj512EllEEvT1_PKT0_PS2_: ; @_ZN9rocsparseL20shift_offsets_kernelILj512EllEEvT1_PKT0_PS2_
; %bb.0:
	s_load_b64 s[2:3], s[0:1], 0x0
	v_lshl_or_b32 v0, s15, 9, v0
	v_mov_b32_e32 v1, 0
	s_waitcnt lgkmcnt(0)
	s_delay_alu instid0(VALU_DEP_1)
	v_cmp_gt_i64_e32 vcc_lo, s[2:3], v[0:1]
	s_and_saveexec_b32 s2, vcc_lo
	s_cbranch_execz .LBB13_2
; %bb.1:
	s_load_b128 s[0:3], s[0:1], 0x8
	v_lshlrev_b64 v[0:1], 3, v[0:1]
	s_waitcnt lgkmcnt(0)
	s_delay_alu instid0(VALU_DEP_1) | instskip(NEXT) | instid1(VALU_DEP_2)
	v_add_co_u32 v2, vcc_lo, s0, v0
	v_add_co_ci_u32_e32 v3, vcc_lo, s1, v1, vcc_lo
	v_add_co_u32 v0, vcc_lo, s2, v0
	v_add_co_ci_u32_e32 v1, vcc_lo, s3, v1, vcc_lo
	global_load_b64 v[2:3], v[2:3], off
	s_load_b64 s[0:1], s[0:1], 0x0
	s_waitcnt vmcnt(0) lgkmcnt(0)
	v_sub_co_u32 v2, vcc_lo, v2, s0
	v_subrev_co_ci_u32_e32 v3, vcc_lo, s1, v3, vcc_lo
	global_store_b64 v[0:1], v[2:3], off
.LBB13_2:
	s_nop 0
	s_sendmsg sendmsg(MSG_DEALLOC_VGPRS)
	s_endpgm
	.section	.rodata,"a",@progbits
	.p2align	6, 0x0
	.amdhsa_kernel _ZN9rocsparseL20shift_offsets_kernelILj512EllEEvT1_PKT0_PS2_
		.amdhsa_group_segment_fixed_size 0
		.amdhsa_private_segment_fixed_size 0
		.amdhsa_kernarg_size 24
		.amdhsa_user_sgpr_count 15
		.amdhsa_user_sgpr_dispatch_ptr 0
		.amdhsa_user_sgpr_queue_ptr 0
		.amdhsa_user_sgpr_kernarg_segment_ptr 1
		.amdhsa_user_sgpr_dispatch_id 0
		.amdhsa_user_sgpr_private_segment_size 0
		.amdhsa_wavefront_size32 1
		.amdhsa_uses_dynamic_stack 0
		.amdhsa_enable_private_segment 0
		.amdhsa_system_sgpr_workgroup_id_x 1
		.amdhsa_system_sgpr_workgroup_id_y 0
		.amdhsa_system_sgpr_workgroup_id_z 0
		.amdhsa_system_sgpr_workgroup_info 0
		.amdhsa_system_vgpr_workitem_id 0
		.amdhsa_next_free_vgpr 4
		.amdhsa_next_free_sgpr 16
		.amdhsa_reserve_vcc 1
		.amdhsa_float_round_mode_32 0
		.amdhsa_float_round_mode_16_64 0
		.amdhsa_float_denorm_mode_32 3
		.amdhsa_float_denorm_mode_16_64 3
		.amdhsa_dx10_clamp 1
		.amdhsa_ieee_mode 1
		.amdhsa_fp16_overflow 0
		.amdhsa_workgroup_processor_mode 1
		.amdhsa_memory_ordered 1
		.amdhsa_forward_progress 0
		.amdhsa_shared_vgpr_count 0
		.amdhsa_exception_fp_ieee_invalid_op 0
		.amdhsa_exception_fp_denorm_src 0
		.amdhsa_exception_fp_ieee_div_zero 0
		.amdhsa_exception_fp_ieee_overflow 0
		.amdhsa_exception_fp_ieee_underflow 0
		.amdhsa_exception_fp_ieee_inexact 0
		.amdhsa_exception_int_div_zero 0
	.end_amdhsa_kernel
	.section	.text._ZN9rocsparseL20shift_offsets_kernelILj512EllEEvT1_PKT0_PS2_,"axG",@progbits,_ZN9rocsparseL20shift_offsets_kernelILj512EllEEvT1_PKT0_PS2_,comdat
.Lfunc_end13:
	.size	_ZN9rocsparseL20shift_offsets_kernelILj512EllEEvT1_PKT0_PS2_, .Lfunc_end13-_ZN9rocsparseL20shift_offsets_kernelILj512EllEEvT1_PKT0_PS2_
                                        ; -- End function
	.section	.AMDGPU.csdata,"",@progbits
; Kernel info:
; codeLenInByte = 140
; NumSgprs: 18
; NumVgprs: 4
; ScratchSize: 0
; MemoryBound: 1
; FloatMode: 240
; IeeeMode: 1
; LDSByteSize: 0 bytes/workgroup (compile time only)
; SGPRBlocks: 2
; VGPRBlocks: 0
; NumSGPRsForWavesPerEU: 18
; NumVGPRsForWavesPerEU: 4
; Occupancy: 16
; WaveLimiterHint : 0
; COMPUTE_PGM_RSRC2:SCRATCH_EN: 0
; COMPUTE_PGM_RSRC2:USER_SGPR: 15
; COMPUTE_PGM_RSRC2:TRAP_HANDLER: 0
; COMPUTE_PGM_RSRC2:TGID_X_EN: 1
; COMPUTE_PGM_RSRC2:TGID_Y_EN: 0
; COMPUTE_PGM_RSRC2:TGID_Z_EN: 0
; COMPUTE_PGM_RSRC2:TIDIG_COMP_CNT: 0
	.section	.text._ZN9rocsparseL25check_matrix_gebsr_deviceILj256EfllEEv20rocsparse_direction_T2_S2_T1_S2_S2_PKT0_PKS3_PKS2_SA_21rocsparse_index_base_22rocsparse_matrix_type_20rocsparse_fill_mode_23rocsparse_storage_mode_P22rocsparse_data_status_,"axG",@progbits,_ZN9rocsparseL25check_matrix_gebsr_deviceILj256EfllEEv20rocsparse_direction_T2_S2_T1_S2_S2_PKT0_PKS3_PKS2_SA_21rocsparse_index_base_22rocsparse_matrix_type_20rocsparse_fill_mode_23rocsparse_storage_mode_P22rocsparse_data_status_,comdat
	.globl	_ZN9rocsparseL25check_matrix_gebsr_deviceILj256EfllEEv20rocsparse_direction_T2_S2_T1_S2_S2_PKT0_PKS3_PKS2_SA_21rocsparse_index_base_22rocsparse_matrix_type_20rocsparse_fill_mode_23rocsparse_storage_mode_P22rocsparse_data_status_ ; -- Begin function _ZN9rocsparseL25check_matrix_gebsr_deviceILj256EfllEEv20rocsparse_direction_T2_S2_T1_S2_S2_PKT0_PKS3_PKS2_SA_21rocsparse_index_base_22rocsparse_matrix_type_20rocsparse_fill_mode_23rocsparse_storage_mode_P22rocsparse_data_status_
	.p2align	8
	.type	_ZN9rocsparseL25check_matrix_gebsr_deviceILj256EfllEEv20rocsparse_direction_T2_S2_T1_S2_S2_PKT0_PKS3_PKS2_SA_21rocsparse_index_base_22rocsparse_matrix_type_20rocsparse_fill_mode_23rocsparse_storage_mode_P22rocsparse_data_status_,@function
_ZN9rocsparseL25check_matrix_gebsr_deviceILj256EfllEEv20rocsparse_direction_T2_S2_T1_S2_S2_PKT0_PKS3_PKS2_SA_21rocsparse_index_base_22rocsparse_matrix_type_20rocsparse_fill_mode_23rocsparse_storage_mode_P22rocsparse_data_status_: ; @_ZN9rocsparseL25check_matrix_gebsr_deviceILj256EfllEEv20rocsparse_direction_T2_S2_T1_S2_S2_PKT0_PKS3_PKS2_SA_21rocsparse_index_base_22rocsparse_matrix_type_20rocsparse_fill_mode_23rocsparse_storage_mode_P22rocsparse_data_status_
; %bb.0:
	s_load_b128 s[16:19], s[0:1], 0x8
	v_lshl_or_b32 v4, s15, 8, v0
	v_mov_b32_e32 v5, 0
	s_mov_b32 s2, exec_lo
	s_waitcnt lgkmcnt(0)
	s_delay_alu instid0(VALU_DEP_1)
	v_cmpx_gt_i64_e64 s[16:17], v[4:5]
	s_cbranch_execz .LBB14_63
; %bb.1:
	s_load_b64 s[2:3], s[0:1], 0x38
	v_lshlrev_b64 v[0:1], 3, v[4:5]
	v_mov_b32_e32 v20, 3
	s_waitcnt lgkmcnt(0)
	s_delay_alu instid0(VALU_DEP_2) | instskip(NEXT) | instid1(VALU_DEP_3)
	v_add_co_u32 v0, vcc_lo, s2, v0
	v_add_co_ci_u32_e32 v1, vcc_lo, s3, v1, vcc_lo
	s_load_b64 s[2:3], s[2:3], 0x0
	global_load_b128 v[0:3], v[0:1], off
	s_waitcnt vmcnt(0) lgkmcnt(0)
	v_sub_co_u32 v6, vcc_lo, v2, s2
	v_subrev_co_ci_u32_e32 v7, vcc_lo, s3, v3, vcc_lo
	v_sub_co_u32 v8, vcc_lo, v0, s2
	v_subrev_co_ci_u32_e32 v9, vcc_lo, s3, v1, vcc_lo
	s_delay_alu instid0(VALU_DEP_3) | instskip(SKIP_1) | instid1(VALU_DEP_3)
	v_cmp_gt_i64_e32 vcc_lo, 0, v[6:7]
	v_cmp_lt_i64_e64 s2, v[2:3], v[0:1]
	v_cmp_lt_i64_e64 s3, -1, v[8:9]
	s_delay_alu instid0(VALU_DEP_2) | instskip(NEXT) | instid1(SALU_CYCLE_1)
	s_or_b32 s2, vcc_lo, s2
	s_xor_b32 s4, s2, -1
	s_mov_b32 s2, -1
	s_delay_alu instid0(VALU_DEP_1) | instskip(NEXT) | instid1(SALU_CYCLE_1)
	s_and_b32 s3, s3, s4
	s_and_saveexec_b32 s22, s3
	s_cbranch_execz .LBB14_61
; %bb.2:
	v_mov_b32_e32 v20, 3
	s_mov_b32 s2, 0
	s_mov_b32 s23, exec_lo
	v_cmpx_lt_i64_e64 v[0:1], v[2:3]
	s_cbranch_execz .LBB14_60
; %bb.3:
	s_clause 0x3
	s_load_b32 s16, s[0:1], 0x0
	s_load_b128 s[12:15], s[0:1], 0x20
	s_load_b256 s[4:11], s[0:1], 0x40
	s_load_b64 s[2:3], s[0:1], 0x30
	s_mov_b32 s29, 0
                                        ; implicit-def: $sgpr33
                                        ; implicit-def: $sgpr34
                                        ; implicit-def: $sgpr35
	s_waitcnt lgkmcnt(0)
	s_cmp_lg_u32 s16, 0
	s_mul_i32 s16, s14, s13
	s_cselect_b32 s24, -1, 0
	s_cmp_lg_u32 s9, 0
	s_mul_hi_u32 s17, s14, s12
	s_cselect_b32 s9, -1, 0
	s_cmp_lg_u32 s10, 0
	s_mul_i32 s20, s15, s12
	s_cselect_b32 s25, -1, 0
	s_cmp_lg_u32 s11, 0
	s_mul_i32 s10, s14, s12
	s_cselect_b32 s26, -1, 0
	s_add_u32 s27, s6, -8
	s_addc_u32 s28, s7, -1
	s_add_i32 s6, s17, s16
	v_mul_lo_u32 v2, s10, v9
	s_add_i32 s11, s6, s20
	v_mad_u64_u32 v[0:1], null, s10, v8, 0
	v_mul_lo_u32 v3, s11, v8
	v_cmp_gt_i64_e64 s30, s[12:13], 0
	v_cmp_gt_i64_e64 s31, s[14:15], 0
	s_lshl_b64 s[6:7], s[10:11], 2
	s_lshl_b64 s[10:11], s[12:13], 2
	;; [unrolled: 1-line block ×3, first 2 shown]
	s_delay_alu instid0(VALU_DEP_3) | instskip(SKIP_1) | instid1(VALU_DEP_2)
	v_add3_u32 v1, v1, v2, v3
	v_dual_mov_b32 v2, v8 :: v_dual_mov_b32 v3, v9
	v_lshlrev_b64 v[0:1], 2, v[0:1]
	s_delay_alu instid0(VALU_DEP_1) | instskip(NEXT) | instid1(VALU_DEP_2)
	v_add_co_u32 v0, vcc_lo, s2, v0
	v_add_co_ci_u32_e32 v1, vcc_lo, s3, v1, vcc_lo
	s_branch .LBB14_9
.LBB14_4:                               ;   in Loop: Header=BB14_9 Depth=1
	s_or_b32 exec_lo, exec_lo, s41
	s_delay_alu instid0(SALU_CYCLE_1)
	s_and_not1_b32 s21, s21, exec_lo
	s_and_b32 s3, s3, exec_lo
	s_or_not1_b32 s2, s2, exec_lo
	s_or_b32 s21, s21, s3
.LBB14_5:                               ;   in Loop: Header=BB14_9 Depth=1
	s_or_b32 exec_lo, exec_lo, s40
	s_delay_alu instid0(SALU_CYCLE_1)
	s_and_not1_b32 s3, s38, exec_lo
	s_and_b32 s21, s21, exec_lo
	s_or_not1_b32 s2, s2, exec_lo
	s_or_b32 s38, s3, s21
.LBB14_6:                               ;   in Loop: Header=BB14_9 Depth=1
	s_or_b32 exec_lo, exec_lo, s20
	s_delay_alu instid0(SALU_CYCLE_1)
	s_or_not1_b32 s3, s38, exec_lo
	s_or_not1_b32 s2, s2, exec_lo
.LBB14_7:                               ;   in Loop: Header=BB14_9 Depth=1
	s_or_b32 exec_lo, exec_lo, s37
	s_delay_alu instid0(SALU_CYCLE_1)
	s_and_not1_b32 s20, s35, exec_lo
	s_and_b32 s3, s3, exec_lo
	s_and_not1_b32 s21, s34, exec_lo
	s_and_b32 s2, s2, exec_lo
	s_or_b32 s35, s20, s3
	s_or_b32 s34, s21, s2
.LBB14_8:                               ;   in Loop: Header=BB14_9 Depth=1
	s_or_b32 exec_lo, exec_lo, s36
	s_delay_alu instid0(SALU_CYCLE_1) | instskip(NEXT) | instid1(SALU_CYCLE_1)
	s_and_b32 s2, exec_lo, s34
	s_or_b32 s29, s2, s29
	s_and_not1_b32 s2, s33, exec_lo
	s_and_b32 s3, s35, exec_lo
	s_delay_alu instid0(SALU_CYCLE_1)
	s_or_b32 s33, s2, s3
	s_and_not1_b32 exec_lo, exec_lo, s29
	s_cbranch_execz .LBB14_59
.LBB14_9:                               ; =>This Loop Header: Depth=1
                                        ;     Child Loop BB14_34 Depth 2
                                        ;       Child Loop BB14_38 Depth 3
                                        ;     Child Loop BB14_17 Depth 2
                                        ;       Child Loop BB14_21 Depth 3
	v_lshlrev_b64 v[16:17], 3, v[2:3]
	v_mov_b32_e32 v20, 4
	s_or_b32 s35, s35, exec_lo
	s_or_b32 s34, s34, exec_lo
	s_delay_alu instid0(VALU_DEP_2) | instskip(NEXT) | instid1(VALU_DEP_3)
	v_add_co_u32 v12, vcc_lo, s4, v16
	v_add_co_ci_u32_e32 v13, vcc_lo, s5, v17, vcc_lo
	global_load_b64 v[10:11], v[12:13], off
	s_waitcnt vmcnt(0)
	v_sub_co_u32 v14, vcc_lo, v10, s8
	v_subrev_co_ci_u32_e32 v15, vcc_lo, 0, v11, vcc_lo
	s_delay_alu instid0(VALU_DEP_1) | instskip(SKIP_1) | instid1(VALU_DEP_1)
	v_cmp_lt_i64_e32 vcc_lo, -1, v[14:15]
	v_cmp_gt_i64_e64 s2, s[18:19], v[14:15]
	s_and_b32 s2, vcc_lo, s2
	s_delay_alu instid0(SALU_CYCLE_1)
	s_and_saveexec_b32 s36, s2
	s_cbranch_execz .LBB14_8
; %bb.10:                               ;   in Loop: Header=BB14_9 Depth=1
	v_cmp_le_i64_e64 s39, v[2:3], v[8:9]
	v_mov_b32_e32 v20, 4
	s_mov_b32 s20, exec_lo
	s_delay_alu instid0(VALU_DEP_2)
	s_mov_b32 s21, s39
	v_cmpx_gt_i64_e64 v[2:3], v[8:9]
	s_cbranch_execz .LBB14_12
; %bb.11:                               ;   in Loop: Header=BB14_9 Depth=1
	v_add_co_u32 v16, vcc_lo, s27, v16
	v_add_co_ci_u32_e32 v17, vcc_lo, s28, v17, vcc_lo
	global_load_b128 v[16:19], v[16:17], off
	s_waitcnt vmcnt(0)
	v_sub_co_u32 v20, vcc_lo, v16, s8
	v_subrev_co_ci_u32_e32 v21, vcc_lo, 0, v17, vcc_lo
	v_cmp_ne_u64_e64 s3, v[18:19], v[16:17]
	s_delay_alu instid0(VALU_DEP_2) | instskip(SKIP_2) | instid1(VALU_DEP_2)
	v_cmp_lt_i64_e32 vcc_lo, -1, v[20:21]
	v_cmp_gt_i64_e64 s2, s[18:19], v[20:21]
	v_mov_b32_e32 v20, 5
	s_and_b32 s2, vcc_lo, s2
	s_delay_alu instid0(SALU_CYCLE_1) | instskip(NEXT) | instid1(SALU_CYCLE_1)
	s_xor_b32 s2, s2, -1
	s_or_b32 s2, s3, s2
	s_and_not1_b32 s3, s39, exec_lo
	s_and_b32 s2, s2, exec_lo
	s_delay_alu instid0(SALU_CYCLE_1)
	s_or_b32 s21, s3, s2
.LBB14_12:                              ;   in Loop: Header=BB14_9 Depth=1
	s_or_b32 exec_lo, exec_lo, s20
	s_mov_b32 s2, -1
	s_mov_b32 s3, -1
	s_and_saveexec_b32 s37, s21
	s_cbranch_execz .LBB14_7
; %bb.13:                               ;   in Loop: Header=BB14_9 Depth=1
	s_and_b32 vcc_lo, exec_lo, s24
	s_cbranch_vccz .LBB14_29
; %bb.14:                               ;   in Loop: Header=BB14_9 Depth=1
	s_and_b32 vcc_lo, exec_lo, s31
	s_cbranch_vccz .LBB14_30
; %bb.15:                               ;   in Loop: Header=BB14_9 Depth=1
	v_dual_mov_b32 v17, v1 :: v_dual_mov_b32 v16, v0
	s_mov_b64 s[2:3], 0
	s_mov_b32 s41, 0
                                        ; implicit-def: $sgpr40
                                        ; implicit-def: $sgpr38
                                        ; implicit-def: $sgpr42
	s_branch .LBB14_17
.LBB14_16:                              ;   in Loop: Header=BB14_17 Depth=2
	s_or_b32 exec_lo, exec_lo, s20
	s_xor_b32 s20, s44, -1
	s_and_b32 s21, exec_lo, s43
	s_delay_alu instid0(SALU_CYCLE_1)
	s_or_b32 s41, s21, s41
	s_and_not1_b32 s21, s38, exec_lo
	s_and_b32 s38, s42, exec_lo
	s_and_not1_b32 s40, s40, exec_lo
	s_and_b32 s20, s20, exec_lo
	s_or_b32 s38, s21, s38
	s_or_b32 s40, s40, s20
	s_and_not1_b32 exec_lo, exec_lo, s41
	s_cbranch_execz .LBB14_28
.LBB14_17:                              ;   Parent Loop BB14_9 Depth=1
                                        ; =>  This Loop Header: Depth=2
                                        ;       Child Loop BB14_21 Depth 3
	s_and_not1_b32 vcc_lo, exec_lo, s30
	s_mov_b32 s43, -1
	s_cbranch_vccnz .LBB14_25
; %bb.18:                               ;   in Loop: Header=BB14_17 Depth=2
	v_dual_mov_b32 v19, v17 :: v_dual_mov_b32 v18, v16
	s_mov_b32 s46, 0
	s_mov_b64 s[20:21], s[12:13]
                                        ; implicit-def: $sgpr45
                                        ; implicit-def: $sgpr44
                                        ; implicit-def: $sgpr47
                                        ; implicit-def: $sgpr48
	s_set_inst_prefetch_distance 0x1
	s_branch .LBB14_21
	.p2align	6
.LBB14_19:                              ;   in Loop: Header=BB14_21 Depth=3
	s_or_b32 exec_lo, exec_lo, s51
	v_mov_b32_e32 v20, 2
	s_and_not1_b32 s48, s48, exec_lo
	s_and_b32 s51, s53, exec_lo
	s_and_not1_b32 s47, s47, exec_lo
	s_and_b32 s52, s52, exec_lo
	s_or_b32 s48, s48, s51
	s_or_b32 s47, s47, s52
.LBB14_20:                              ;   in Loop: Header=BB14_21 Depth=3
	s_or_b32 exec_lo, exec_lo, s50
	s_xor_b32 s50, s48, -1
	s_and_b32 s51, exec_lo, s47
	s_delay_alu instid0(SALU_CYCLE_1)
	s_or_b32 s46, s51, s46
	s_and_not1_b32 s44, s44, exec_lo
	s_and_b32 s49, s49, exec_lo
	s_and_not1_b32 s45, s45, exec_lo
	s_and_b32 s50, s50, exec_lo
	s_or_b32 s44, s44, s49
	s_or_b32 s45, s45, s50
	s_and_not1_b32 exec_lo, exec_lo, s46
	s_cbranch_execz .LBB14_24
.LBB14_21:                              ;   Parent Loop BB14_9 Depth=1
                                        ;     Parent Loop BB14_17 Depth=2
                                        ; =>    This Inner Loop Header: Depth=3
	global_load_b32 v21, v[18:19], off
	v_mov_b32_e32 v20, 1
	s_mov_b32 s49, -1
	s_or_b32 s48, s48, exec_lo
	s_or_b32 s47, s47, exec_lo
	s_mov_b32 s50, exec_lo
	s_waitcnt vmcnt(0)
	v_cmpx_neq_f32_e32 0x7f800000, v21
	s_xor_b32 s50, exec_lo, s50
	s_cbranch_execz .LBB14_20
; %bb.22:                               ;   in Loop: Header=BB14_21 Depth=3
	s_mov_b32 s52, -1
	s_mov_b32 s53, -1
	s_mov_b32 s51, exec_lo
	v_cmpx_o_f32_e32 v21, v21
	s_cbranch_execz .LBB14_19
; %bb.23:                               ;   in Loop: Header=BB14_21 Depth=3
	s_add_u32 s20, s20, -1
	s_addc_u32 s21, s21, -1
	v_add_co_u32 v18, vcc_lo, v18, 4
	s_cmp_eq_u64 s[20:21], 0
	v_add_co_ci_u32_e32 v19, vcc_lo, 0, v19, vcc_lo
	s_cselect_b32 s52, -1, 0
	s_xor_b32 s53, exec_lo, -1
	s_or_not1_b32 s52, s52, exec_lo
	s_branch .LBB14_19
.LBB14_24:                              ;   in Loop: Header=BB14_17 Depth=2
	s_set_inst_prefetch_distance 0x2
	s_or_b32 exec_lo, exec_lo, s46
	s_branch .LBB14_26
.LBB14_25:                              ;   in Loop: Header=BB14_17 Depth=2
	s_mov_b32 s45, -1
                                        ; implicit-def: $sgpr44
                                        ; implicit-def: $vgpr20
.LBB14_26:                              ;   in Loop: Header=BB14_17 Depth=2
	s_and_not1_b32 s20, s42, exec_lo
	s_and_b32 s21, s44, exec_lo
	s_delay_alu instid0(SALU_CYCLE_1)
	s_or_b32 s42, s20, s21
	s_and_saveexec_b32 s20, s45
	s_cbranch_execz .LBB14_16
; %bb.27:                               ;   in Loop: Header=BB14_17 Depth=2
	s_add_u32 s2, s2, 1
	s_addc_u32 s3, s3, 0
	v_add_co_u32 v16, vcc_lo, v16, s10
	s_cmp_eq_u64 s[2:3], s[14:15]
	v_add_co_ci_u32_e32 v17, vcc_lo, s11, v17, vcc_lo
	s_cselect_b32 s21, -1, 0
	s_and_not1_b32 s44, s44, exec_lo
	s_and_not1_b32 s42, s42, exec_lo
	s_or_not1_b32 s43, s21, exec_lo
                                        ; implicit-def: $vgpr20
	s_branch .LBB14_16
.LBB14_28:                              ;   in Loop: Header=BB14_9 Depth=1
	s_or_b32 exec_lo, exec_lo, s41
	s_branch .LBB14_46
.LBB14_29:                              ;   in Loop: Header=BB14_9 Depth=1
	s_mov_b32 s40, 0
	s_mov_b32 s38, -1
	s_and_b32 vcc_lo, exec_lo, s2
	s_cbranch_vccnz .LBB14_31
	s_branch .LBB14_46
.LBB14_30:                              ;   in Loop: Header=BB14_9 Depth=1
	s_mov_b32 s40, -1
	s_mov_b32 s38, -1
	s_branch .LBB14_46
.LBB14_31:                              ;   in Loop: Header=BB14_9 Depth=1
	s_and_b32 vcc_lo, exec_lo, s30
	s_cbranch_vccz .LBB14_50
; %bb.32:                               ;   in Loop: Header=BB14_9 Depth=1
	v_dual_mov_b32 v17, v1 :: v_dual_mov_b32 v16, v0
	s_mov_b64 s[2:3], 0
	s_mov_b32 s41, 0
                                        ; implicit-def: $sgpr40
                                        ; implicit-def: $sgpr38
                                        ; implicit-def: $sgpr42
	s_branch .LBB14_34
.LBB14_33:                              ;   in Loop: Header=BB14_34 Depth=2
	s_or_b32 exec_lo, exec_lo, s20
	s_xor_b32 s20, s44, -1
	s_and_b32 s21, exec_lo, s43
	s_delay_alu instid0(SALU_CYCLE_1)
	s_or_b32 s41, s21, s41
	s_and_not1_b32 s21, s38, exec_lo
	s_and_b32 s38, s42, exec_lo
	s_and_not1_b32 s40, s40, exec_lo
	s_and_b32 s20, s20, exec_lo
	s_or_b32 s38, s21, s38
	s_or_b32 s40, s40, s20
	s_and_not1_b32 exec_lo, exec_lo, s41
	s_cbranch_execz .LBB14_45
.LBB14_34:                              ;   Parent Loop BB14_9 Depth=1
                                        ; =>  This Loop Header: Depth=2
                                        ;       Child Loop BB14_38 Depth 3
	s_and_not1_b32 vcc_lo, exec_lo, s31
	s_mov_b32 s43, -1
	s_cbranch_vccnz .LBB14_42
; %bb.35:                               ;   in Loop: Header=BB14_34 Depth=2
	v_dual_mov_b32 v19, v17 :: v_dual_mov_b32 v18, v16
	s_mov_b32 s46, 0
	s_mov_b64 s[20:21], s[14:15]
                                        ; implicit-def: $sgpr45
                                        ; implicit-def: $sgpr44
                                        ; implicit-def: $sgpr47
                                        ; implicit-def: $sgpr48
	s_set_inst_prefetch_distance 0x1
	s_branch .LBB14_38
	.p2align	6
.LBB14_36:                              ;   in Loop: Header=BB14_38 Depth=3
	s_or_b32 exec_lo, exec_lo, s51
	v_mov_b32_e32 v20, 2
	s_and_not1_b32 s48, s48, exec_lo
	s_and_b32 s51, s53, exec_lo
	s_and_not1_b32 s47, s47, exec_lo
	s_and_b32 s52, s52, exec_lo
	s_or_b32 s48, s48, s51
	s_or_b32 s47, s47, s52
.LBB14_37:                              ;   in Loop: Header=BB14_38 Depth=3
	s_or_b32 exec_lo, exec_lo, s50
	s_xor_b32 s50, s48, -1
	s_and_b32 s51, exec_lo, s47
	s_delay_alu instid0(SALU_CYCLE_1)
	s_or_b32 s46, s51, s46
	s_and_not1_b32 s44, s44, exec_lo
	s_and_b32 s49, s49, exec_lo
	s_and_not1_b32 s45, s45, exec_lo
	s_and_b32 s50, s50, exec_lo
	s_or_b32 s44, s44, s49
	s_or_b32 s45, s45, s50
	s_and_not1_b32 exec_lo, exec_lo, s46
	s_cbranch_execz .LBB14_41
.LBB14_38:                              ;   Parent Loop BB14_9 Depth=1
                                        ;     Parent Loop BB14_34 Depth=2
                                        ; =>    This Inner Loop Header: Depth=3
	global_load_b32 v21, v[18:19], off
	v_mov_b32_e32 v20, 1
	s_mov_b32 s49, -1
	s_or_b32 s48, s48, exec_lo
	s_or_b32 s47, s47, exec_lo
	s_mov_b32 s50, exec_lo
	s_waitcnt vmcnt(0)
	v_cmpx_neq_f32_e32 0x7f800000, v21
	s_xor_b32 s50, exec_lo, s50
	s_cbranch_execz .LBB14_37
; %bb.39:                               ;   in Loop: Header=BB14_38 Depth=3
	s_mov_b32 s52, -1
	s_mov_b32 s53, -1
	s_mov_b32 s51, exec_lo
	v_cmpx_o_f32_e32 v21, v21
	s_cbranch_execz .LBB14_36
; %bb.40:                               ;   in Loop: Header=BB14_38 Depth=3
	s_add_u32 s20, s20, -1
	s_addc_u32 s21, s21, -1
	v_add_co_u32 v18, vcc_lo, v18, 4
	s_cmp_eq_u64 s[20:21], 0
	v_add_co_ci_u32_e32 v19, vcc_lo, 0, v19, vcc_lo
	s_cselect_b32 s52, -1, 0
	s_xor_b32 s53, exec_lo, -1
	s_or_not1_b32 s52, s52, exec_lo
	s_branch .LBB14_36
.LBB14_41:                              ;   in Loop: Header=BB14_34 Depth=2
	s_set_inst_prefetch_distance 0x2
	s_or_b32 exec_lo, exec_lo, s46
	s_branch .LBB14_43
.LBB14_42:                              ;   in Loop: Header=BB14_34 Depth=2
	s_mov_b32 s45, -1
                                        ; implicit-def: $sgpr44
                                        ; implicit-def: $vgpr20
.LBB14_43:                              ;   in Loop: Header=BB14_34 Depth=2
	s_and_not1_b32 s20, s42, exec_lo
	s_and_b32 s21, s44, exec_lo
	s_delay_alu instid0(SALU_CYCLE_1)
	s_or_b32 s42, s20, s21
	s_and_saveexec_b32 s20, s45
	s_cbranch_execz .LBB14_33
; %bb.44:                               ;   in Loop: Header=BB14_34 Depth=2
	s_add_u32 s2, s2, 1
	s_addc_u32 s3, s3, 0
	v_add_co_u32 v16, vcc_lo, v16, s16
	s_cmp_eq_u64 s[2:3], s[12:13]
	v_add_co_ci_u32_e32 v17, vcc_lo, s17, v17, vcc_lo
	s_cselect_b32 s21, -1, 0
	s_and_not1_b32 s44, s44, exec_lo
	s_and_not1_b32 s42, s42, exec_lo
	s_or_not1_b32 s43, s21, exec_lo
                                        ; implicit-def: $vgpr20
	s_branch .LBB14_33
.LBB14_45:                              ;   in Loop: Header=BB14_9 Depth=1
	s_or_b32 exec_lo, exec_lo, s41
.LBB14_46:                              ;   in Loop: Header=BB14_9 Depth=1
	s_mov_b32 s2, -1
	s_and_saveexec_b32 s20, s40
	s_cbranch_execz .LBB14_6
.LBB14_47:                              ;   in Loop: Header=BB14_9 Depth=1
	s_and_b32 vcc_lo, exec_lo, s9
	s_cbranch_vccz .LBB14_51
; %bb.48:                               ;   in Loop: Header=BB14_9 Depth=1
	s_and_b32 vcc_lo, exec_lo, s25
	s_cbranch_vccz .LBB14_52
; %bb.49:                               ;   in Loop: Header=BB14_9 Depth=1
	v_cmp_ge_i64_e32 vcc_lo, v[14:15], v[4:5]
	v_mov_b32_e32 v20, 7
	s_or_b32 s21, s38, exec_lo
	s_and_b32 s3, vcc_lo, exec_lo
	s_cbranch_execz .LBB14_53
	s_branch .LBB14_54
.LBB14_50:                              ;   in Loop: Header=BB14_9 Depth=1
	s_mov_b32 s40, -1
	s_mov_b32 s2, -1
	s_and_saveexec_b32 s20, s40
	s_cbranch_execz .LBB14_6
	s_branch .LBB14_47
.LBB14_51:                              ;   in Loop: Header=BB14_9 Depth=1
	s_mov_b32 s3, -1
	s_mov_b32 s21, s38
	s_branch .LBB14_54
.LBB14_52:                              ;   in Loop: Header=BB14_9 Depth=1
	s_mov_b32 s3, 0
	s_mov_b32 s21, s38
.LBB14_53:                              ;   in Loop: Header=BB14_9 Depth=1
	v_cmp_le_i64_e32 vcc_lo, v[14:15], v[4:5]
	v_mov_b32_e32 v20, 7
	s_and_not1_b32 s3, s3, exec_lo
	s_or_b32 s21, s21, exec_lo
	s_and_b32 s40, vcc_lo, exec_lo
	s_delay_alu instid0(SALU_CYCLE_1)
	s_or_b32 s3, s3, s40
.LBB14_54:                              ;   in Loop: Header=BB14_9 Depth=1
	s_delay_alu instid0(SALU_CYCLE_1)
	s_and_saveexec_b32 s40, s3
	s_cbranch_execz .LBB14_5
; %bb.55:                               ;   in Loop: Header=BB14_9 Depth=1
	s_or_b32 s39, s26, s39
	s_mov_b32 s3, s21
	s_xor_b32 s2, s39, -1
	s_delay_alu instid0(SALU_CYCLE_1)
	s_and_saveexec_b32 s41, s2
	s_cbranch_execz .LBB14_57
; %bb.56:                               ;   in Loop: Header=BB14_9 Depth=1
	global_load_b64 v[12:13], v[12:13], off offset:-8
	v_mov_b32_e32 v20, 6
	s_and_not1_b32 s39, s39, exec_lo
	s_waitcnt vmcnt(0)
	v_sub_co_u32 v14, vcc_lo, v12, s8
	v_subrev_co_ci_u32_e32 v15, vcc_lo, 0, v13, vcc_lo
	v_cmp_gt_i64_e64 s3, v[10:11], v[12:13]
	s_delay_alu instid0(VALU_DEP_2) | instskip(SKIP_1) | instid1(VALU_DEP_1)
	v_cmp_lt_i64_e32 vcc_lo, -1, v[14:15]
	v_cmp_gt_i64_e64 s2, s[18:19], v[14:15]
	s_and_b32 s2, vcc_lo, s2
	s_delay_alu instid0(SALU_CYCLE_1)
	s_xor_b32 s2, s2, -1
	s_delay_alu instid0(VALU_DEP_3) | instid1(SALU_CYCLE_1)
	s_or_b32 s2, s3, s2
	s_or_b32 s3, s21, exec_lo
	s_and_b32 s2, s2, exec_lo
	s_delay_alu instid0(SALU_CYCLE_1)
	s_or_b32 s39, s39, s2
.LBB14_57:                              ;   in Loop: Header=BB14_9 Depth=1
	s_or_b32 exec_lo, exec_lo, s41
	s_mov_b32 s2, -1
	s_and_saveexec_b32 s41, s39
	s_cbranch_execz .LBB14_4
; %bb.58:                               ;   in Loop: Header=BB14_9 Depth=1
	v_add_co_u32 v2, vcc_lo, v2, 1
	v_add_co_ci_u32_e32 v3, vcc_lo, 0, v3, vcc_lo
	v_add_co_u32 v0, s2, v0, s6
	s_delay_alu instid0(VALU_DEP_1) | instskip(NEXT) | instid1(VALU_DEP_3)
	v_add_co_ci_u32_e64 v1, s2, s7, v1, s2
	v_cmp_ge_i64_e32 vcc_lo, v[2:3], v[6:7]
	s_and_not1_b32 s3, s3, exec_lo
                                        ; implicit-def: $vgpr20
	s_or_not1_b32 s2, vcc_lo, exec_lo
	s_branch .LBB14_4
.LBB14_59:
	s_or_b32 exec_lo, exec_lo, s29
	s_delay_alu instid0(SALU_CYCLE_1)
	s_and_b32 s2, s33, exec_lo
.LBB14_60:
	s_or_b32 exec_lo, exec_lo, s23
	s_delay_alu instid0(SALU_CYCLE_1)
	s_or_not1_b32 s2, s2, exec_lo
.LBB14_61:
	s_or_b32 exec_lo, exec_lo, s22
	s_delay_alu instid0(SALU_CYCLE_1)
	s_and_b32 exec_lo, exec_lo, s2
	s_cbranch_execz .LBB14_63
; %bb.62:
	s_load_b64 s[0:1], s[0:1], 0x60
	v_mov_b32_e32 v0, 0
	s_waitcnt lgkmcnt(0)
	global_store_b32 v0, v20, s[0:1]
.LBB14_63:
	s_nop 0
	s_sendmsg sendmsg(MSG_DEALLOC_VGPRS)
	s_endpgm
	.section	.rodata,"a",@progbits
	.p2align	6, 0x0
	.amdhsa_kernel _ZN9rocsparseL25check_matrix_gebsr_deviceILj256EfllEEv20rocsparse_direction_T2_S2_T1_S2_S2_PKT0_PKS3_PKS2_SA_21rocsparse_index_base_22rocsparse_matrix_type_20rocsparse_fill_mode_23rocsparse_storage_mode_P22rocsparse_data_status_
		.amdhsa_group_segment_fixed_size 0
		.amdhsa_private_segment_fixed_size 0
		.amdhsa_kernarg_size 104
		.amdhsa_user_sgpr_count 15
		.amdhsa_user_sgpr_dispatch_ptr 0
		.amdhsa_user_sgpr_queue_ptr 0
		.amdhsa_user_sgpr_kernarg_segment_ptr 1
		.amdhsa_user_sgpr_dispatch_id 0
		.amdhsa_user_sgpr_private_segment_size 0
		.amdhsa_wavefront_size32 1
		.amdhsa_uses_dynamic_stack 0
		.amdhsa_enable_private_segment 0
		.amdhsa_system_sgpr_workgroup_id_x 1
		.amdhsa_system_sgpr_workgroup_id_y 0
		.amdhsa_system_sgpr_workgroup_id_z 0
		.amdhsa_system_sgpr_workgroup_info 0
		.amdhsa_system_vgpr_workitem_id 0
		.amdhsa_next_free_vgpr 22
		.amdhsa_next_free_sgpr 54
		.amdhsa_reserve_vcc 1
		.amdhsa_float_round_mode_32 0
		.amdhsa_float_round_mode_16_64 0
		.amdhsa_float_denorm_mode_32 3
		.amdhsa_float_denorm_mode_16_64 3
		.amdhsa_dx10_clamp 1
		.amdhsa_ieee_mode 1
		.amdhsa_fp16_overflow 0
		.amdhsa_workgroup_processor_mode 1
		.amdhsa_memory_ordered 1
		.amdhsa_forward_progress 0
		.amdhsa_shared_vgpr_count 0
		.amdhsa_exception_fp_ieee_invalid_op 0
		.amdhsa_exception_fp_denorm_src 0
		.amdhsa_exception_fp_ieee_div_zero 0
		.amdhsa_exception_fp_ieee_overflow 0
		.amdhsa_exception_fp_ieee_underflow 0
		.amdhsa_exception_fp_ieee_inexact 0
		.amdhsa_exception_int_div_zero 0
	.end_amdhsa_kernel
	.section	.text._ZN9rocsparseL25check_matrix_gebsr_deviceILj256EfllEEv20rocsparse_direction_T2_S2_T1_S2_S2_PKT0_PKS3_PKS2_SA_21rocsparse_index_base_22rocsparse_matrix_type_20rocsparse_fill_mode_23rocsparse_storage_mode_P22rocsparse_data_status_,"axG",@progbits,_ZN9rocsparseL25check_matrix_gebsr_deviceILj256EfllEEv20rocsparse_direction_T2_S2_T1_S2_S2_PKT0_PKS3_PKS2_SA_21rocsparse_index_base_22rocsparse_matrix_type_20rocsparse_fill_mode_23rocsparse_storage_mode_P22rocsparse_data_status_,comdat
.Lfunc_end14:
	.size	_ZN9rocsparseL25check_matrix_gebsr_deviceILj256EfllEEv20rocsparse_direction_T2_S2_T1_S2_S2_PKT0_PKS3_PKS2_SA_21rocsparse_index_base_22rocsparse_matrix_type_20rocsparse_fill_mode_23rocsparse_storage_mode_P22rocsparse_data_status_, .Lfunc_end14-_ZN9rocsparseL25check_matrix_gebsr_deviceILj256EfllEEv20rocsparse_direction_T2_S2_T1_S2_S2_PKT0_PKS3_PKS2_SA_21rocsparse_index_base_22rocsparse_matrix_type_20rocsparse_fill_mode_23rocsparse_storage_mode_P22rocsparse_data_status_
                                        ; -- End function
	.section	.AMDGPU.csdata,"",@progbits
; Kernel info:
; codeLenInByte = 2020
; NumSgprs: 56
; NumVgprs: 22
; ScratchSize: 0
; MemoryBound: 0
; FloatMode: 240
; IeeeMode: 1
; LDSByteSize: 0 bytes/workgroup (compile time only)
; SGPRBlocks: 6
; VGPRBlocks: 2
; NumSGPRsForWavesPerEU: 56
; NumVGPRsForWavesPerEU: 22
; Occupancy: 16
; WaveLimiterHint : 0
; COMPUTE_PGM_RSRC2:SCRATCH_EN: 0
; COMPUTE_PGM_RSRC2:USER_SGPR: 15
; COMPUTE_PGM_RSRC2:TRAP_HANDLER: 0
; COMPUTE_PGM_RSRC2:TGID_X_EN: 1
; COMPUTE_PGM_RSRC2:TGID_Y_EN: 0
; COMPUTE_PGM_RSRC2:TGID_Z_EN: 0
; COMPUTE_PGM_RSRC2:TIDIG_COMP_CNT: 0
	.section	.text._ZN9rocsparseL25check_matrix_gebsr_deviceILj256EdllEEv20rocsparse_direction_T2_S2_T1_S2_S2_PKT0_PKS3_PKS2_SA_21rocsparse_index_base_22rocsparse_matrix_type_20rocsparse_fill_mode_23rocsparse_storage_mode_P22rocsparse_data_status_,"axG",@progbits,_ZN9rocsparseL25check_matrix_gebsr_deviceILj256EdllEEv20rocsparse_direction_T2_S2_T1_S2_S2_PKT0_PKS3_PKS2_SA_21rocsparse_index_base_22rocsparse_matrix_type_20rocsparse_fill_mode_23rocsparse_storage_mode_P22rocsparse_data_status_,comdat
	.globl	_ZN9rocsparseL25check_matrix_gebsr_deviceILj256EdllEEv20rocsparse_direction_T2_S2_T1_S2_S2_PKT0_PKS3_PKS2_SA_21rocsparse_index_base_22rocsparse_matrix_type_20rocsparse_fill_mode_23rocsparse_storage_mode_P22rocsparse_data_status_ ; -- Begin function _ZN9rocsparseL25check_matrix_gebsr_deviceILj256EdllEEv20rocsparse_direction_T2_S2_T1_S2_S2_PKT0_PKS3_PKS2_SA_21rocsparse_index_base_22rocsparse_matrix_type_20rocsparse_fill_mode_23rocsparse_storage_mode_P22rocsparse_data_status_
	.p2align	8
	.type	_ZN9rocsparseL25check_matrix_gebsr_deviceILj256EdllEEv20rocsparse_direction_T2_S2_T1_S2_S2_PKT0_PKS3_PKS2_SA_21rocsparse_index_base_22rocsparse_matrix_type_20rocsparse_fill_mode_23rocsparse_storage_mode_P22rocsparse_data_status_,@function
_ZN9rocsparseL25check_matrix_gebsr_deviceILj256EdllEEv20rocsparse_direction_T2_S2_T1_S2_S2_PKT0_PKS3_PKS2_SA_21rocsparse_index_base_22rocsparse_matrix_type_20rocsparse_fill_mode_23rocsparse_storage_mode_P22rocsparse_data_status_: ; @_ZN9rocsparseL25check_matrix_gebsr_deviceILj256EdllEEv20rocsparse_direction_T2_S2_T1_S2_S2_PKT0_PKS3_PKS2_SA_21rocsparse_index_base_22rocsparse_matrix_type_20rocsparse_fill_mode_23rocsparse_storage_mode_P22rocsparse_data_status_
; %bb.0:
	s_load_b128 s[16:19], s[0:1], 0x8
	v_lshl_or_b32 v4, s15, 8, v0
	v_mov_b32_e32 v5, 0
	s_mov_b32 s2, exec_lo
	s_waitcnt lgkmcnt(0)
	s_delay_alu instid0(VALU_DEP_1)
	v_cmpx_gt_i64_e64 s[16:17], v[4:5]
	s_cbranch_execz .LBB15_63
; %bb.1:
	s_load_b64 s[2:3], s[0:1], 0x38
	v_lshlrev_b64 v[0:1], 3, v[4:5]
	v_mov_b32_e32 v22, 3
	s_waitcnt lgkmcnt(0)
	s_delay_alu instid0(VALU_DEP_2) | instskip(NEXT) | instid1(VALU_DEP_3)
	v_add_co_u32 v0, vcc_lo, s2, v0
	v_add_co_ci_u32_e32 v1, vcc_lo, s3, v1, vcc_lo
	s_load_b64 s[2:3], s[2:3], 0x0
	global_load_b128 v[0:3], v[0:1], off
	s_waitcnt vmcnt(0) lgkmcnt(0)
	v_sub_co_u32 v6, vcc_lo, v2, s2
	v_subrev_co_ci_u32_e32 v7, vcc_lo, s3, v3, vcc_lo
	v_sub_co_u32 v8, vcc_lo, v0, s2
	v_subrev_co_ci_u32_e32 v9, vcc_lo, s3, v1, vcc_lo
	s_delay_alu instid0(VALU_DEP_3) | instskip(SKIP_1) | instid1(VALU_DEP_3)
	v_cmp_gt_i64_e32 vcc_lo, 0, v[6:7]
	v_cmp_lt_i64_e64 s2, v[2:3], v[0:1]
	v_cmp_lt_i64_e64 s3, -1, v[8:9]
	s_delay_alu instid0(VALU_DEP_2) | instskip(NEXT) | instid1(SALU_CYCLE_1)
	s_or_b32 s2, vcc_lo, s2
	s_xor_b32 s4, s2, -1
	s_mov_b32 s2, -1
	s_delay_alu instid0(VALU_DEP_1) | instskip(NEXT) | instid1(SALU_CYCLE_1)
	s_and_b32 s3, s3, s4
	s_and_saveexec_b32 s22, s3
	s_cbranch_execz .LBB15_61
; %bb.2:
	v_mov_b32_e32 v22, 3
	s_mov_b32 s2, 0
	s_mov_b32 s23, exec_lo
	v_cmpx_lt_i64_e64 v[0:1], v[2:3]
	s_cbranch_execz .LBB15_60
; %bb.3:
	s_clause 0x3
	s_load_b32 s16, s[0:1], 0x0
	s_load_b128 s[12:15], s[0:1], 0x20
	s_load_b256 s[4:11], s[0:1], 0x40
	s_load_b64 s[2:3], s[0:1], 0x30
	s_mov_b32 s29, 0
                                        ; implicit-def: $sgpr33
                                        ; implicit-def: $sgpr34
                                        ; implicit-def: $sgpr35
	s_waitcnt lgkmcnt(0)
	s_cmp_lg_u32 s16, 0
	s_mul_i32 s16, s14, s13
	s_cselect_b32 s24, -1, 0
	s_cmp_lg_u32 s9, 0
	s_mul_hi_u32 s17, s14, s12
	s_cselect_b32 s9, -1, 0
	s_cmp_lg_u32 s10, 0
	s_mul_i32 s20, s15, s12
	s_cselect_b32 s25, -1, 0
	s_cmp_lg_u32 s11, 0
	s_mul_i32 s10, s14, s12
	s_cselect_b32 s26, -1, 0
	s_add_u32 s27, s6, -8
	s_addc_u32 s28, s7, -1
	s_add_i32 s6, s17, s16
	v_mul_lo_u32 v2, s10, v9
	s_add_i32 s11, s6, s20
	v_mad_u64_u32 v[0:1], null, s10, v8, 0
	v_mul_lo_u32 v3, s11, v8
	v_cmp_gt_i64_e64 s30, s[12:13], 0
	v_cmp_gt_i64_e64 s31, s[14:15], 0
	s_lshl_b64 s[6:7], s[10:11], 3
	s_lshl_b64 s[10:11], s[12:13], 3
	;; [unrolled: 1-line block ×3, first 2 shown]
	s_delay_alu instid0(VALU_DEP_3) | instskip(SKIP_1) | instid1(VALU_DEP_2)
	v_add3_u32 v1, v1, v2, v3
	v_dual_mov_b32 v2, v8 :: v_dual_mov_b32 v3, v9
	v_lshlrev_b64 v[0:1], 3, v[0:1]
	s_delay_alu instid0(VALU_DEP_1) | instskip(NEXT) | instid1(VALU_DEP_2)
	v_add_co_u32 v0, vcc_lo, s2, v0
	v_add_co_ci_u32_e32 v1, vcc_lo, s3, v1, vcc_lo
	s_branch .LBB15_9
.LBB15_4:                               ;   in Loop: Header=BB15_9 Depth=1
	s_or_b32 exec_lo, exec_lo, s41
	s_delay_alu instid0(SALU_CYCLE_1)
	s_and_not1_b32 s21, s21, exec_lo
	s_and_b32 s3, s3, exec_lo
	s_or_not1_b32 s2, s2, exec_lo
	s_or_b32 s21, s21, s3
.LBB15_5:                               ;   in Loop: Header=BB15_9 Depth=1
	s_or_b32 exec_lo, exec_lo, s40
	s_delay_alu instid0(SALU_CYCLE_1)
	s_and_not1_b32 s3, s38, exec_lo
	s_and_b32 s21, s21, exec_lo
	s_or_not1_b32 s2, s2, exec_lo
	s_or_b32 s38, s3, s21
.LBB15_6:                               ;   in Loop: Header=BB15_9 Depth=1
	s_or_b32 exec_lo, exec_lo, s20
	s_delay_alu instid0(SALU_CYCLE_1)
	s_or_not1_b32 s3, s38, exec_lo
	s_or_not1_b32 s2, s2, exec_lo
.LBB15_7:                               ;   in Loop: Header=BB15_9 Depth=1
	s_or_b32 exec_lo, exec_lo, s37
	s_delay_alu instid0(SALU_CYCLE_1)
	s_and_not1_b32 s20, s35, exec_lo
	s_and_b32 s3, s3, exec_lo
	s_and_not1_b32 s21, s34, exec_lo
	s_and_b32 s2, s2, exec_lo
	s_or_b32 s35, s20, s3
	s_or_b32 s34, s21, s2
.LBB15_8:                               ;   in Loop: Header=BB15_9 Depth=1
	s_or_b32 exec_lo, exec_lo, s36
	s_delay_alu instid0(SALU_CYCLE_1) | instskip(NEXT) | instid1(SALU_CYCLE_1)
	s_and_b32 s2, exec_lo, s34
	s_or_b32 s29, s2, s29
	s_and_not1_b32 s2, s33, exec_lo
	s_and_b32 s3, s35, exec_lo
	s_delay_alu instid0(SALU_CYCLE_1)
	s_or_b32 s33, s2, s3
	s_and_not1_b32 exec_lo, exec_lo, s29
	s_cbranch_execz .LBB15_59
.LBB15_9:                               ; =>This Loop Header: Depth=1
                                        ;     Child Loop BB15_34 Depth 2
                                        ;       Child Loop BB15_38 Depth 3
                                        ;     Child Loop BB15_17 Depth 2
                                        ;       Child Loop BB15_21 Depth 3
	v_lshlrev_b64 v[16:17], 3, v[2:3]
	v_mov_b32_e32 v22, 4
	s_or_b32 s35, s35, exec_lo
	s_or_b32 s34, s34, exec_lo
	s_delay_alu instid0(VALU_DEP_2) | instskip(NEXT) | instid1(VALU_DEP_3)
	v_add_co_u32 v12, vcc_lo, s4, v16
	v_add_co_ci_u32_e32 v13, vcc_lo, s5, v17, vcc_lo
	global_load_b64 v[10:11], v[12:13], off
	s_waitcnt vmcnt(0)
	v_sub_co_u32 v14, vcc_lo, v10, s8
	v_subrev_co_ci_u32_e32 v15, vcc_lo, 0, v11, vcc_lo
	s_delay_alu instid0(VALU_DEP_1) | instskip(SKIP_1) | instid1(VALU_DEP_1)
	v_cmp_lt_i64_e32 vcc_lo, -1, v[14:15]
	v_cmp_gt_i64_e64 s2, s[18:19], v[14:15]
	s_and_b32 s2, vcc_lo, s2
	s_delay_alu instid0(SALU_CYCLE_1)
	s_and_saveexec_b32 s36, s2
	s_cbranch_execz .LBB15_8
; %bb.10:                               ;   in Loop: Header=BB15_9 Depth=1
	v_cmp_le_i64_e64 s39, v[2:3], v[8:9]
	v_mov_b32_e32 v22, 4
	s_mov_b32 s20, exec_lo
	s_delay_alu instid0(VALU_DEP_2)
	s_mov_b32 s21, s39
	v_cmpx_gt_i64_e64 v[2:3], v[8:9]
	s_cbranch_execz .LBB15_12
; %bb.11:                               ;   in Loop: Header=BB15_9 Depth=1
	v_add_co_u32 v16, vcc_lo, s27, v16
	v_add_co_ci_u32_e32 v17, vcc_lo, s28, v17, vcc_lo
	v_mov_b32_e32 v22, 5
	global_load_b128 v[16:19], v[16:17], off
	s_waitcnt vmcnt(0)
	v_sub_co_u32 v20, vcc_lo, v16, s8
	v_subrev_co_ci_u32_e32 v21, vcc_lo, 0, v17, vcc_lo
	v_cmp_ne_u64_e64 s3, v[18:19], v[16:17]
	s_delay_alu instid0(VALU_DEP_2) | instskip(SKIP_1) | instid1(VALU_DEP_1)
	v_cmp_lt_i64_e32 vcc_lo, -1, v[20:21]
	v_cmp_gt_i64_e64 s2, s[18:19], v[20:21]
	s_and_b32 s2, vcc_lo, s2
	s_delay_alu instid0(SALU_CYCLE_1)
	s_xor_b32 s2, s2, -1
	s_delay_alu instid0(VALU_DEP_3) | instid1(SALU_CYCLE_1)
	s_or_b32 s2, s3, s2
	s_and_not1_b32 s3, s39, exec_lo
	s_and_b32 s2, s2, exec_lo
	s_delay_alu instid0(SALU_CYCLE_1)
	s_or_b32 s21, s3, s2
.LBB15_12:                              ;   in Loop: Header=BB15_9 Depth=1
	s_or_b32 exec_lo, exec_lo, s20
	s_mov_b32 s2, -1
	s_mov_b32 s3, -1
	s_and_saveexec_b32 s37, s21
	s_cbranch_execz .LBB15_7
; %bb.13:                               ;   in Loop: Header=BB15_9 Depth=1
	s_and_b32 vcc_lo, exec_lo, s24
	s_cbranch_vccz .LBB15_29
; %bb.14:                               ;   in Loop: Header=BB15_9 Depth=1
	s_and_b32 vcc_lo, exec_lo, s31
	s_cbranch_vccz .LBB15_30
; %bb.15:                               ;   in Loop: Header=BB15_9 Depth=1
	v_dual_mov_b32 v17, v1 :: v_dual_mov_b32 v16, v0
	s_mov_b64 s[2:3], 0
	s_mov_b32 s41, 0
                                        ; implicit-def: $sgpr40
                                        ; implicit-def: $sgpr38
                                        ; implicit-def: $sgpr42
	s_branch .LBB15_17
.LBB15_16:                              ;   in Loop: Header=BB15_17 Depth=2
	s_or_b32 exec_lo, exec_lo, s20
	s_xor_b32 s20, s44, -1
	s_and_b32 s21, exec_lo, s43
	s_delay_alu instid0(SALU_CYCLE_1)
	s_or_b32 s41, s21, s41
	s_and_not1_b32 s21, s38, exec_lo
	s_and_b32 s38, s42, exec_lo
	s_and_not1_b32 s40, s40, exec_lo
	s_and_b32 s20, s20, exec_lo
	s_or_b32 s38, s21, s38
	s_or_b32 s40, s40, s20
	s_and_not1_b32 exec_lo, exec_lo, s41
	s_cbranch_execz .LBB15_28
.LBB15_17:                              ;   Parent Loop BB15_9 Depth=1
                                        ; =>  This Loop Header: Depth=2
                                        ;       Child Loop BB15_21 Depth 3
	s_and_not1_b32 vcc_lo, exec_lo, s30
	s_mov_b32 s43, -1
	s_cbranch_vccnz .LBB15_25
; %bb.18:                               ;   in Loop: Header=BB15_17 Depth=2
	v_dual_mov_b32 v19, v17 :: v_dual_mov_b32 v18, v16
	s_mov_b32 s46, 0
	s_mov_b64 s[20:21], s[12:13]
                                        ; implicit-def: $sgpr45
                                        ; implicit-def: $sgpr44
                                        ; implicit-def: $sgpr47
                                        ; implicit-def: $sgpr48
	s_set_inst_prefetch_distance 0x1
	s_branch .LBB15_21
	.p2align	6
.LBB15_19:                              ;   in Loop: Header=BB15_21 Depth=3
	s_or_b32 exec_lo, exec_lo, s51
	v_mov_b32_e32 v22, 2
	s_and_not1_b32 s48, s48, exec_lo
	s_and_b32 s51, s53, exec_lo
	s_and_not1_b32 s47, s47, exec_lo
	s_and_b32 s52, s52, exec_lo
	s_or_b32 s48, s48, s51
	s_or_b32 s47, s47, s52
.LBB15_20:                              ;   in Loop: Header=BB15_21 Depth=3
	s_or_b32 exec_lo, exec_lo, s50
	s_xor_b32 s50, s48, -1
	s_and_b32 s51, exec_lo, s47
	s_delay_alu instid0(SALU_CYCLE_1)
	s_or_b32 s46, s51, s46
	s_and_not1_b32 s44, s44, exec_lo
	s_and_b32 s49, s49, exec_lo
	s_and_not1_b32 s45, s45, exec_lo
	s_and_b32 s50, s50, exec_lo
	s_or_b32 s44, s44, s49
	s_or_b32 s45, s45, s50
	s_and_not1_b32 exec_lo, exec_lo, s46
	s_cbranch_execz .LBB15_24
.LBB15_21:                              ;   Parent Loop BB15_9 Depth=1
                                        ;     Parent Loop BB15_17 Depth=2
                                        ; =>    This Inner Loop Header: Depth=3
	global_load_b64 v[20:21], v[18:19], off
	v_mov_b32_e32 v22, 1
	s_mov_b32 s49, -1
	s_or_b32 s48, s48, exec_lo
	s_or_b32 s47, s47, exec_lo
	s_mov_b32 s50, exec_lo
	s_waitcnt vmcnt(0)
	v_cmpx_neq_f64_e32 0x7ff00000, v[20:21]
	s_xor_b32 s50, exec_lo, s50
	s_cbranch_execz .LBB15_20
; %bb.22:                               ;   in Loop: Header=BB15_21 Depth=3
	s_mov_b32 s52, -1
	s_mov_b32 s53, -1
	s_mov_b32 s51, exec_lo
	v_cmpx_o_f64_e32 v[20:21], v[20:21]
	s_cbranch_execz .LBB15_19
; %bb.23:                               ;   in Loop: Header=BB15_21 Depth=3
	s_add_u32 s20, s20, -1
	s_addc_u32 s21, s21, -1
	v_add_co_u32 v18, vcc_lo, v18, 8
	s_cmp_eq_u64 s[20:21], 0
	v_add_co_ci_u32_e32 v19, vcc_lo, 0, v19, vcc_lo
	s_cselect_b32 s52, -1, 0
	s_xor_b32 s53, exec_lo, -1
	s_or_not1_b32 s52, s52, exec_lo
	s_branch .LBB15_19
.LBB15_24:                              ;   in Loop: Header=BB15_17 Depth=2
	s_set_inst_prefetch_distance 0x2
	s_or_b32 exec_lo, exec_lo, s46
	s_branch .LBB15_26
.LBB15_25:                              ;   in Loop: Header=BB15_17 Depth=2
	s_mov_b32 s45, -1
                                        ; implicit-def: $sgpr44
                                        ; implicit-def: $vgpr22
.LBB15_26:                              ;   in Loop: Header=BB15_17 Depth=2
	s_and_not1_b32 s20, s42, exec_lo
	s_and_b32 s21, s44, exec_lo
	s_delay_alu instid0(SALU_CYCLE_1)
	s_or_b32 s42, s20, s21
	s_and_saveexec_b32 s20, s45
	s_cbranch_execz .LBB15_16
; %bb.27:                               ;   in Loop: Header=BB15_17 Depth=2
	s_add_u32 s2, s2, 1
	s_addc_u32 s3, s3, 0
	v_add_co_u32 v16, vcc_lo, v16, s10
	s_cmp_eq_u64 s[2:3], s[14:15]
	v_add_co_ci_u32_e32 v17, vcc_lo, s11, v17, vcc_lo
	s_cselect_b32 s21, -1, 0
	s_and_not1_b32 s44, s44, exec_lo
	s_and_not1_b32 s42, s42, exec_lo
	s_or_not1_b32 s43, s21, exec_lo
                                        ; implicit-def: $vgpr22
	s_branch .LBB15_16
.LBB15_28:                              ;   in Loop: Header=BB15_9 Depth=1
	s_or_b32 exec_lo, exec_lo, s41
	s_branch .LBB15_46
.LBB15_29:                              ;   in Loop: Header=BB15_9 Depth=1
	s_mov_b32 s40, 0
	s_mov_b32 s38, -1
	s_and_b32 vcc_lo, exec_lo, s2
	s_cbranch_vccnz .LBB15_31
	s_branch .LBB15_46
.LBB15_30:                              ;   in Loop: Header=BB15_9 Depth=1
	s_mov_b32 s40, -1
	s_mov_b32 s38, -1
	s_branch .LBB15_46
.LBB15_31:                              ;   in Loop: Header=BB15_9 Depth=1
	s_and_b32 vcc_lo, exec_lo, s30
	s_cbranch_vccz .LBB15_50
; %bb.32:                               ;   in Loop: Header=BB15_9 Depth=1
	v_dual_mov_b32 v17, v1 :: v_dual_mov_b32 v16, v0
	s_mov_b64 s[2:3], 0
	s_mov_b32 s41, 0
                                        ; implicit-def: $sgpr40
                                        ; implicit-def: $sgpr38
                                        ; implicit-def: $sgpr42
	s_branch .LBB15_34
.LBB15_33:                              ;   in Loop: Header=BB15_34 Depth=2
	s_or_b32 exec_lo, exec_lo, s20
	s_xor_b32 s20, s44, -1
	s_and_b32 s21, exec_lo, s43
	s_delay_alu instid0(SALU_CYCLE_1)
	s_or_b32 s41, s21, s41
	s_and_not1_b32 s21, s38, exec_lo
	s_and_b32 s38, s42, exec_lo
	s_and_not1_b32 s40, s40, exec_lo
	s_and_b32 s20, s20, exec_lo
	s_or_b32 s38, s21, s38
	s_or_b32 s40, s40, s20
	s_and_not1_b32 exec_lo, exec_lo, s41
	s_cbranch_execz .LBB15_45
.LBB15_34:                              ;   Parent Loop BB15_9 Depth=1
                                        ; =>  This Loop Header: Depth=2
                                        ;       Child Loop BB15_38 Depth 3
	s_and_not1_b32 vcc_lo, exec_lo, s31
	s_mov_b32 s43, -1
	s_cbranch_vccnz .LBB15_42
; %bb.35:                               ;   in Loop: Header=BB15_34 Depth=2
	v_dual_mov_b32 v19, v17 :: v_dual_mov_b32 v18, v16
	s_mov_b32 s46, 0
	s_mov_b64 s[20:21], s[14:15]
                                        ; implicit-def: $sgpr45
                                        ; implicit-def: $sgpr44
                                        ; implicit-def: $sgpr47
                                        ; implicit-def: $sgpr48
	s_set_inst_prefetch_distance 0x1
	s_branch .LBB15_38
	.p2align	6
.LBB15_36:                              ;   in Loop: Header=BB15_38 Depth=3
	s_or_b32 exec_lo, exec_lo, s51
	v_mov_b32_e32 v22, 2
	s_and_not1_b32 s48, s48, exec_lo
	s_and_b32 s51, s53, exec_lo
	s_and_not1_b32 s47, s47, exec_lo
	s_and_b32 s52, s52, exec_lo
	s_or_b32 s48, s48, s51
	s_or_b32 s47, s47, s52
.LBB15_37:                              ;   in Loop: Header=BB15_38 Depth=3
	s_or_b32 exec_lo, exec_lo, s50
	s_xor_b32 s50, s48, -1
	s_and_b32 s51, exec_lo, s47
	s_delay_alu instid0(SALU_CYCLE_1)
	s_or_b32 s46, s51, s46
	s_and_not1_b32 s44, s44, exec_lo
	s_and_b32 s49, s49, exec_lo
	s_and_not1_b32 s45, s45, exec_lo
	s_and_b32 s50, s50, exec_lo
	s_or_b32 s44, s44, s49
	s_or_b32 s45, s45, s50
	s_and_not1_b32 exec_lo, exec_lo, s46
	s_cbranch_execz .LBB15_41
.LBB15_38:                              ;   Parent Loop BB15_9 Depth=1
                                        ;     Parent Loop BB15_34 Depth=2
                                        ; =>    This Inner Loop Header: Depth=3
	global_load_b64 v[20:21], v[18:19], off
	v_mov_b32_e32 v22, 1
	s_mov_b32 s49, -1
	s_or_b32 s48, s48, exec_lo
	s_or_b32 s47, s47, exec_lo
	s_mov_b32 s50, exec_lo
	s_waitcnt vmcnt(0)
	v_cmpx_neq_f64_e32 0x7ff00000, v[20:21]
	s_xor_b32 s50, exec_lo, s50
	s_cbranch_execz .LBB15_37
; %bb.39:                               ;   in Loop: Header=BB15_38 Depth=3
	s_mov_b32 s52, -1
	s_mov_b32 s53, -1
	s_mov_b32 s51, exec_lo
	v_cmpx_o_f64_e32 v[20:21], v[20:21]
	s_cbranch_execz .LBB15_36
; %bb.40:                               ;   in Loop: Header=BB15_38 Depth=3
	s_add_u32 s20, s20, -1
	s_addc_u32 s21, s21, -1
	v_add_co_u32 v18, vcc_lo, v18, 8
	s_cmp_eq_u64 s[20:21], 0
	v_add_co_ci_u32_e32 v19, vcc_lo, 0, v19, vcc_lo
	s_cselect_b32 s52, -1, 0
	s_xor_b32 s53, exec_lo, -1
	s_or_not1_b32 s52, s52, exec_lo
	s_branch .LBB15_36
.LBB15_41:                              ;   in Loop: Header=BB15_34 Depth=2
	s_set_inst_prefetch_distance 0x2
	s_or_b32 exec_lo, exec_lo, s46
	s_branch .LBB15_43
.LBB15_42:                              ;   in Loop: Header=BB15_34 Depth=2
	s_mov_b32 s45, -1
                                        ; implicit-def: $sgpr44
                                        ; implicit-def: $vgpr22
.LBB15_43:                              ;   in Loop: Header=BB15_34 Depth=2
	s_and_not1_b32 s20, s42, exec_lo
	s_and_b32 s21, s44, exec_lo
	s_delay_alu instid0(SALU_CYCLE_1)
	s_or_b32 s42, s20, s21
	s_and_saveexec_b32 s20, s45
	s_cbranch_execz .LBB15_33
; %bb.44:                               ;   in Loop: Header=BB15_34 Depth=2
	s_add_u32 s2, s2, 1
	s_addc_u32 s3, s3, 0
	v_add_co_u32 v16, vcc_lo, v16, s16
	s_cmp_eq_u64 s[2:3], s[12:13]
	v_add_co_ci_u32_e32 v17, vcc_lo, s17, v17, vcc_lo
	s_cselect_b32 s21, -1, 0
	s_and_not1_b32 s44, s44, exec_lo
	s_and_not1_b32 s42, s42, exec_lo
	s_or_not1_b32 s43, s21, exec_lo
                                        ; implicit-def: $vgpr22
	s_branch .LBB15_33
.LBB15_45:                              ;   in Loop: Header=BB15_9 Depth=1
	s_or_b32 exec_lo, exec_lo, s41
.LBB15_46:                              ;   in Loop: Header=BB15_9 Depth=1
	s_mov_b32 s2, -1
	s_and_saveexec_b32 s20, s40
	s_cbranch_execz .LBB15_6
.LBB15_47:                              ;   in Loop: Header=BB15_9 Depth=1
	s_and_b32 vcc_lo, exec_lo, s9
	s_cbranch_vccz .LBB15_51
; %bb.48:                               ;   in Loop: Header=BB15_9 Depth=1
	s_and_b32 vcc_lo, exec_lo, s25
	s_cbranch_vccz .LBB15_52
; %bb.49:                               ;   in Loop: Header=BB15_9 Depth=1
	v_cmp_ge_i64_e32 vcc_lo, v[14:15], v[4:5]
	v_mov_b32_e32 v22, 7
	s_or_b32 s21, s38, exec_lo
	s_and_b32 s3, vcc_lo, exec_lo
	s_cbranch_execz .LBB15_53
	s_branch .LBB15_54
.LBB15_50:                              ;   in Loop: Header=BB15_9 Depth=1
	s_mov_b32 s40, -1
	s_mov_b32 s2, -1
	s_and_saveexec_b32 s20, s40
	s_cbranch_execz .LBB15_6
	s_branch .LBB15_47
.LBB15_51:                              ;   in Loop: Header=BB15_9 Depth=1
	s_mov_b32 s3, -1
	s_mov_b32 s21, s38
	s_branch .LBB15_54
.LBB15_52:                              ;   in Loop: Header=BB15_9 Depth=1
	s_mov_b32 s3, 0
	s_mov_b32 s21, s38
.LBB15_53:                              ;   in Loop: Header=BB15_9 Depth=1
	v_cmp_le_i64_e32 vcc_lo, v[14:15], v[4:5]
	v_mov_b32_e32 v22, 7
	s_and_not1_b32 s3, s3, exec_lo
	s_or_b32 s21, s21, exec_lo
	s_and_b32 s40, vcc_lo, exec_lo
	s_delay_alu instid0(SALU_CYCLE_1)
	s_or_b32 s3, s3, s40
.LBB15_54:                              ;   in Loop: Header=BB15_9 Depth=1
	s_delay_alu instid0(SALU_CYCLE_1)
	s_and_saveexec_b32 s40, s3
	s_cbranch_execz .LBB15_5
; %bb.55:                               ;   in Loop: Header=BB15_9 Depth=1
	s_or_b32 s39, s26, s39
	s_mov_b32 s3, s21
	s_xor_b32 s2, s39, -1
	s_delay_alu instid0(SALU_CYCLE_1)
	s_and_saveexec_b32 s41, s2
	s_cbranch_execz .LBB15_57
; %bb.56:                               ;   in Loop: Header=BB15_9 Depth=1
	global_load_b64 v[12:13], v[12:13], off offset:-8
	v_mov_b32_e32 v22, 6
	s_and_not1_b32 s39, s39, exec_lo
	s_waitcnt vmcnt(0)
	v_sub_co_u32 v14, vcc_lo, v12, s8
	v_subrev_co_ci_u32_e32 v15, vcc_lo, 0, v13, vcc_lo
	v_cmp_gt_i64_e64 s3, v[10:11], v[12:13]
	s_delay_alu instid0(VALU_DEP_2) | instskip(SKIP_1) | instid1(VALU_DEP_1)
	v_cmp_lt_i64_e32 vcc_lo, -1, v[14:15]
	v_cmp_gt_i64_e64 s2, s[18:19], v[14:15]
	s_and_b32 s2, vcc_lo, s2
	s_delay_alu instid0(SALU_CYCLE_1)
	s_xor_b32 s2, s2, -1
	s_delay_alu instid0(VALU_DEP_3) | instid1(SALU_CYCLE_1)
	s_or_b32 s2, s3, s2
	s_or_b32 s3, s21, exec_lo
	s_and_b32 s2, s2, exec_lo
	s_delay_alu instid0(SALU_CYCLE_1)
	s_or_b32 s39, s39, s2
.LBB15_57:                              ;   in Loop: Header=BB15_9 Depth=1
	s_or_b32 exec_lo, exec_lo, s41
	s_mov_b32 s2, -1
	s_and_saveexec_b32 s41, s39
	s_cbranch_execz .LBB15_4
; %bb.58:                               ;   in Loop: Header=BB15_9 Depth=1
	v_add_co_u32 v2, vcc_lo, v2, 1
	v_add_co_ci_u32_e32 v3, vcc_lo, 0, v3, vcc_lo
	v_add_co_u32 v0, s2, v0, s6
	s_delay_alu instid0(VALU_DEP_1) | instskip(NEXT) | instid1(VALU_DEP_3)
	v_add_co_ci_u32_e64 v1, s2, s7, v1, s2
	v_cmp_ge_i64_e32 vcc_lo, v[2:3], v[6:7]
	s_and_not1_b32 s3, s3, exec_lo
                                        ; implicit-def: $vgpr22
	s_or_not1_b32 s2, vcc_lo, exec_lo
	s_branch .LBB15_4
.LBB15_59:
	s_or_b32 exec_lo, exec_lo, s29
	s_delay_alu instid0(SALU_CYCLE_1)
	s_and_b32 s2, s33, exec_lo
.LBB15_60:
	s_or_b32 exec_lo, exec_lo, s23
	s_delay_alu instid0(SALU_CYCLE_1)
	s_or_not1_b32 s2, s2, exec_lo
.LBB15_61:
	s_or_b32 exec_lo, exec_lo, s22
	s_delay_alu instid0(SALU_CYCLE_1)
	s_and_b32 exec_lo, exec_lo, s2
	s_cbranch_execz .LBB15_63
; %bb.62:
	s_load_b64 s[0:1], s[0:1], 0x60
	v_mov_b32_e32 v0, 0
	s_waitcnt lgkmcnt(0)
	global_store_b32 v0, v22, s[0:1]
.LBB15_63:
	s_nop 0
	s_sendmsg sendmsg(MSG_DEALLOC_VGPRS)
	s_endpgm
	.section	.rodata,"a",@progbits
	.p2align	6, 0x0
	.amdhsa_kernel _ZN9rocsparseL25check_matrix_gebsr_deviceILj256EdllEEv20rocsparse_direction_T2_S2_T1_S2_S2_PKT0_PKS3_PKS2_SA_21rocsparse_index_base_22rocsparse_matrix_type_20rocsparse_fill_mode_23rocsparse_storage_mode_P22rocsparse_data_status_
		.amdhsa_group_segment_fixed_size 0
		.amdhsa_private_segment_fixed_size 0
		.amdhsa_kernarg_size 104
		.amdhsa_user_sgpr_count 15
		.amdhsa_user_sgpr_dispatch_ptr 0
		.amdhsa_user_sgpr_queue_ptr 0
		.amdhsa_user_sgpr_kernarg_segment_ptr 1
		.amdhsa_user_sgpr_dispatch_id 0
		.amdhsa_user_sgpr_private_segment_size 0
		.amdhsa_wavefront_size32 1
		.amdhsa_uses_dynamic_stack 0
		.amdhsa_enable_private_segment 0
		.amdhsa_system_sgpr_workgroup_id_x 1
		.amdhsa_system_sgpr_workgroup_id_y 0
		.amdhsa_system_sgpr_workgroup_id_z 0
		.amdhsa_system_sgpr_workgroup_info 0
		.amdhsa_system_vgpr_workitem_id 0
		.amdhsa_next_free_vgpr 23
		.amdhsa_next_free_sgpr 54
		.amdhsa_reserve_vcc 1
		.amdhsa_float_round_mode_32 0
		.amdhsa_float_round_mode_16_64 0
		.amdhsa_float_denorm_mode_32 3
		.amdhsa_float_denorm_mode_16_64 3
		.amdhsa_dx10_clamp 1
		.amdhsa_ieee_mode 1
		.amdhsa_fp16_overflow 0
		.amdhsa_workgroup_processor_mode 1
		.amdhsa_memory_ordered 1
		.amdhsa_forward_progress 0
		.amdhsa_shared_vgpr_count 0
		.amdhsa_exception_fp_ieee_invalid_op 0
		.amdhsa_exception_fp_denorm_src 0
		.amdhsa_exception_fp_ieee_div_zero 0
		.amdhsa_exception_fp_ieee_overflow 0
		.amdhsa_exception_fp_ieee_underflow 0
		.amdhsa_exception_fp_ieee_inexact 0
		.amdhsa_exception_int_div_zero 0
	.end_amdhsa_kernel
	.section	.text._ZN9rocsparseL25check_matrix_gebsr_deviceILj256EdllEEv20rocsparse_direction_T2_S2_T1_S2_S2_PKT0_PKS3_PKS2_SA_21rocsparse_index_base_22rocsparse_matrix_type_20rocsparse_fill_mode_23rocsparse_storage_mode_P22rocsparse_data_status_,"axG",@progbits,_ZN9rocsparseL25check_matrix_gebsr_deviceILj256EdllEEv20rocsparse_direction_T2_S2_T1_S2_S2_PKT0_PKS3_PKS2_SA_21rocsparse_index_base_22rocsparse_matrix_type_20rocsparse_fill_mode_23rocsparse_storage_mode_P22rocsparse_data_status_,comdat
.Lfunc_end15:
	.size	_ZN9rocsparseL25check_matrix_gebsr_deviceILj256EdllEEv20rocsparse_direction_T2_S2_T1_S2_S2_PKT0_PKS3_PKS2_SA_21rocsparse_index_base_22rocsparse_matrix_type_20rocsparse_fill_mode_23rocsparse_storage_mode_P22rocsparse_data_status_, .Lfunc_end15-_ZN9rocsparseL25check_matrix_gebsr_deviceILj256EdllEEv20rocsparse_direction_T2_S2_T1_S2_S2_PKT0_PKS3_PKS2_SA_21rocsparse_index_base_22rocsparse_matrix_type_20rocsparse_fill_mode_23rocsparse_storage_mode_P22rocsparse_data_status_
                                        ; -- End function
	.section	.AMDGPU.csdata,"",@progbits
; Kernel info:
; codeLenInByte = 2024
; NumSgprs: 56
; NumVgprs: 23
; ScratchSize: 0
; MemoryBound: 0
; FloatMode: 240
; IeeeMode: 1
; LDSByteSize: 0 bytes/workgroup (compile time only)
; SGPRBlocks: 6
; VGPRBlocks: 2
; NumSGPRsForWavesPerEU: 56
; NumVGPRsForWavesPerEU: 23
; Occupancy: 16
; WaveLimiterHint : 0
; COMPUTE_PGM_RSRC2:SCRATCH_EN: 0
; COMPUTE_PGM_RSRC2:USER_SGPR: 15
; COMPUTE_PGM_RSRC2:TRAP_HANDLER: 0
; COMPUTE_PGM_RSRC2:TGID_X_EN: 1
; COMPUTE_PGM_RSRC2:TGID_Y_EN: 0
; COMPUTE_PGM_RSRC2:TGID_Z_EN: 0
; COMPUTE_PGM_RSRC2:TIDIG_COMP_CNT: 0
	.section	.text._ZN9rocsparseL25check_matrix_gebsr_deviceILj256E21rocsparse_complex_numIfEllEEv20rocsparse_direction_T2_S4_T1_S4_S4_PKT0_PKS5_PKS4_SC_21rocsparse_index_base_22rocsparse_matrix_type_20rocsparse_fill_mode_23rocsparse_storage_mode_P22rocsparse_data_status_,"axG",@progbits,_ZN9rocsparseL25check_matrix_gebsr_deviceILj256E21rocsparse_complex_numIfEllEEv20rocsparse_direction_T2_S4_T1_S4_S4_PKT0_PKS5_PKS4_SC_21rocsparse_index_base_22rocsparse_matrix_type_20rocsparse_fill_mode_23rocsparse_storage_mode_P22rocsparse_data_status_,comdat
	.globl	_ZN9rocsparseL25check_matrix_gebsr_deviceILj256E21rocsparse_complex_numIfEllEEv20rocsparse_direction_T2_S4_T1_S4_S4_PKT0_PKS5_PKS4_SC_21rocsparse_index_base_22rocsparse_matrix_type_20rocsparse_fill_mode_23rocsparse_storage_mode_P22rocsparse_data_status_ ; -- Begin function _ZN9rocsparseL25check_matrix_gebsr_deviceILj256E21rocsparse_complex_numIfEllEEv20rocsparse_direction_T2_S4_T1_S4_S4_PKT0_PKS5_PKS4_SC_21rocsparse_index_base_22rocsparse_matrix_type_20rocsparse_fill_mode_23rocsparse_storage_mode_P22rocsparse_data_status_
	.p2align	8
	.type	_ZN9rocsparseL25check_matrix_gebsr_deviceILj256E21rocsparse_complex_numIfEllEEv20rocsparse_direction_T2_S4_T1_S4_S4_PKT0_PKS5_PKS4_SC_21rocsparse_index_base_22rocsparse_matrix_type_20rocsparse_fill_mode_23rocsparse_storage_mode_P22rocsparse_data_status_,@function
_ZN9rocsparseL25check_matrix_gebsr_deviceILj256E21rocsparse_complex_numIfEllEEv20rocsparse_direction_T2_S4_T1_S4_S4_PKT0_PKS5_PKS4_SC_21rocsparse_index_base_22rocsparse_matrix_type_20rocsparse_fill_mode_23rocsparse_storage_mode_P22rocsparse_data_status_: ; @_ZN9rocsparseL25check_matrix_gebsr_deviceILj256E21rocsparse_complex_numIfEllEEv20rocsparse_direction_T2_S4_T1_S4_S4_PKT0_PKS5_PKS4_SC_21rocsparse_index_base_22rocsparse_matrix_type_20rocsparse_fill_mode_23rocsparse_storage_mode_P22rocsparse_data_status_
; %bb.0:
	s_load_b128 s[16:19], s[0:1], 0x8
	v_lshl_or_b32 v4, s15, 8, v0
	v_mov_b32_e32 v5, 0
	s_mov_b32 s2, exec_lo
	s_waitcnt lgkmcnt(0)
	s_delay_alu instid0(VALU_DEP_1)
	v_cmpx_gt_i64_e64 s[16:17], v[4:5]
	s_cbranch_execz .LBB16_63
; %bb.1:
	s_load_b64 s[2:3], s[0:1], 0x38
	v_lshlrev_b64 v[0:1], 3, v[4:5]
	v_mov_b32_e32 v22, 3
	s_waitcnt lgkmcnt(0)
	s_delay_alu instid0(VALU_DEP_2) | instskip(NEXT) | instid1(VALU_DEP_3)
	v_add_co_u32 v0, vcc_lo, s2, v0
	v_add_co_ci_u32_e32 v1, vcc_lo, s3, v1, vcc_lo
	s_load_b64 s[2:3], s[2:3], 0x0
	global_load_b128 v[0:3], v[0:1], off
	s_waitcnt vmcnt(0) lgkmcnt(0)
	v_sub_co_u32 v6, vcc_lo, v2, s2
	v_subrev_co_ci_u32_e32 v7, vcc_lo, s3, v3, vcc_lo
	v_sub_co_u32 v8, vcc_lo, v0, s2
	v_subrev_co_ci_u32_e32 v9, vcc_lo, s3, v1, vcc_lo
	s_delay_alu instid0(VALU_DEP_3) | instskip(SKIP_1) | instid1(VALU_DEP_3)
	v_cmp_gt_i64_e32 vcc_lo, 0, v[6:7]
	v_cmp_lt_i64_e64 s2, v[2:3], v[0:1]
	v_cmp_lt_i64_e64 s3, -1, v[8:9]
	s_delay_alu instid0(VALU_DEP_2) | instskip(NEXT) | instid1(SALU_CYCLE_1)
	s_or_b32 s2, vcc_lo, s2
	s_xor_b32 s4, s2, -1
	s_mov_b32 s2, -1
	s_delay_alu instid0(VALU_DEP_1) | instskip(NEXT) | instid1(SALU_CYCLE_1)
	s_and_b32 s3, s3, s4
	s_and_saveexec_b32 s24, s3
	s_cbranch_execz .LBB16_61
; %bb.2:
	v_mov_b32_e32 v22, 3
	s_mov_b32 s2, 0
	s_mov_b32 s25, exec_lo
	v_cmpx_lt_i64_e64 v[0:1], v[2:3]
	s_cbranch_execz .LBB16_60
; %bb.3:
	s_clause 0x3
	s_load_b32 s16, s[0:1], 0x0
	s_load_b128 s[12:15], s[0:1], 0x20
	s_load_b256 s[4:11], s[0:1], 0x40
	s_load_b64 s[2:3], s[0:1], 0x30
	s_mov_b32 s31, 0
                                        ; implicit-def: $sgpr35
                                        ; implicit-def: $sgpr36
                                        ; implicit-def: $sgpr37
	s_waitcnt lgkmcnt(0)
	s_cmp_lg_u32 s16, 0
	s_mul_i32 s16, s14, s13
	s_cselect_b32 s26, -1, 0
	s_cmp_lg_u32 s9, 0
	s_mul_hi_u32 s17, s14, s12
	s_cselect_b32 s9, -1, 0
	s_cmp_lg_u32 s10, 0
	s_mul_i32 s20, s15, s12
	s_cselect_b32 s27, -1, 0
	s_cmp_lg_u32 s11, 0
	s_mul_i32 s10, s14, s12
	s_cselect_b32 s28, -1, 0
	s_add_u32 s29, s6, -8
	s_addc_u32 s30, s7, -1
	s_add_i32 s6, s17, s16
	v_mul_lo_u32 v2, s10, v9
	s_add_i32 s11, s6, s20
	v_mad_u64_u32 v[0:1], null, s10, v8, 0
	v_mul_lo_u32 v3, s11, v8
	v_cmp_gt_i64_e64 s33, s[12:13], 0
	v_cmp_gt_i64_e64 s34, s[14:15], 0
	s_lshl_b64 s[6:7], s[10:11], 3
	s_lshl_b64 s[10:11], s[12:13], 3
	;; [unrolled: 1-line block ×3, first 2 shown]
	s_delay_alu instid0(VALU_DEP_3) | instskip(SKIP_1) | instid1(VALU_DEP_2)
	v_add3_u32 v1, v1, v2, v3
	v_dual_mov_b32 v2, v8 :: v_dual_mov_b32 v3, v9
	v_lshlrev_b64 v[0:1], 3, v[0:1]
	s_delay_alu instid0(VALU_DEP_1) | instskip(NEXT) | instid1(VALU_DEP_2)
	v_add_co_u32 v0, vcc_lo, v0, s2
	v_add_co_ci_u32_e32 v1, vcc_lo, s3, v1, vcc_lo
	s_delay_alu instid0(VALU_DEP_2) | instskip(NEXT) | instid1(VALU_DEP_2)
	v_add_co_u32 v0, vcc_lo, v0, 4
	v_add_co_ci_u32_e32 v1, vcc_lo, 0, v1, vcc_lo
	s_branch .LBB16_9
.LBB16_4:                               ;   in Loop: Header=BB16_9 Depth=1
	s_or_b32 exec_lo, exec_lo, s41
	s_delay_alu instid0(SALU_CYCLE_1)
	s_and_not1_b32 s21, s21, exec_lo
	s_and_b32 s3, s3, exec_lo
	s_or_not1_b32 s2, s2, exec_lo
	s_or_b32 s21, s21, s3
.LBB16_5:                               ;   in Loop: Header=BB16_9 Depth=1
	s_or_b32 exec_lo, exec_lo, s22
	s_delay_alu instid0(SALU_CYCLE_1)
	s_and_not1_b32 s3, s40, exec_lo
	s_and_b32 s21, s21, exec_lo
	s_or_not1_b32 s2, s2, exec_lo
	s_or_b32 s40, s3, s21
.LBB16_6:                               ;   in Loop: Header=BB16_9 Depth=1
	s_or_b32 exec_lo, exec_lo, s20
	s_delay_alu instid0(SALU_CYCLE_1)
	s_or_not1_b32 s3, s40, exec_lo
	s_or_not1_b32 s2, s2, exec_lo
.LBB16_7:                               ;   in Loop: Header=BB16_9 Depth=1
	s_or_b32 exec_lo, exec_lo, s39
	s_delay_alu instid0(SALU_CYCLE_1)
	s_and_not1_b32 s20, s37, exec_lo
	s_and_b32 s3, s3, exec_lo
	s_and_not1_b32 s21, s36, exec_lo
	s_and_b32 s2, s2, exec_lo
	s_or_b32 s37, s20, s3
	s_or_b32 s36, s21, s2
.LBB16_8:                               ;   in Loop: Header=BB16_9 Depth=1
	s_or_b32 exec_lo, exec_lo, s38
	s_delay_alu instid0(SALU_CYCLE_1) | instskip(NEXT) | instid1(SALU_CYCLE_1)
	s_and_b32 s2, exec_lo, s36
	s_or_b32 s31, s2, s31
	s_and_not1_b32 s2, s35, exec_lo
	s_and_b32 s3, s37, exec_lo
	s_delay_alu instid0(SALU_CYCLE_1)
	s_or_b32 s35, s2, s3
	s_and_not1_b32 exec_lo, exec_lo, s31
	s_cbranch_execz .LBB16_59
.LBB16_9:                               ; =>This Loop Header: Depth=1
                                        ;     Child Loop BB16_34 Depth 2
                                        ;       Child Loop BB16_38 Depth 3
                                        ;     Child Loop BB16_17 Depth 2
                                        ;       Child Loop BB16_21 Depth 3
	v_lshlrev_b64 v[16:17], 3, v[2:3]
	v_mov_b32_e32 v22, 4
	s_or_b32 s37, s37, exec_lo
	s_or_b32 s36, s36, exec_lo
	s_delay_alu instid0(VALU_DEP_2) | instskip(NEXT) | instid1(VALU_DEP_3)
	v_add_co_u32 v12, vcc_lo, s4, v16
	v_add_co_ci_u32_e32 v13, vcc_lo, s5, v17, vcc_lo
	global_load_b64 v[10:11], v[12:13], off
	s_waitcnt vmcnt(0)
	v_sub_co_u32 v14, vcc_lo, v10, s8
	v_subrev_co_ci_u32_e32 v15, vcc_lo, 0, v11, vcc_lo
	s_delay_alu instid0(VALU_DEP_1) | instskip(SKIP_1) | instid1(VALU_DEP_1)
	v_cmp_lt_i64_e32 vcc_lo, -1, v[14:15]
	v_cmp_gt_i64_e64 s2, s[18:19], v[14:15]
	s_and_b32 s2, vcc_lo, s2
	s_delay_alu instid0(SALU_CYCLE_1)
	s_and_saveexec_b32 s38, s2
	s_cbranch_execz .LBB16_8
; %bb.10:                               ;   in Loop: Header=BB16_9 Depth=1
	v_cmp_le_i64_e64 s41, v[2:3], v[8:9]
	v_mov_b32_e32 v22, 4
	s_mov_b32 s20, exec_lo
	s_delay_alu instid0(VALU_DEP_2)
	s_mov_b32 s21, s41
	v_cmpx_gt_i64_e64 v[2:3], v[8:9]
	s_cbranch_execz .LBB16_12
; %bb.11:                               ;   in Loop: Header=BB16_9 Depth=1
	v_add_co_u32 v16, vcc_lo, s29, v16
	v_add_co_ci_u32_e32 v17, vcc_lo, s30, v17, vcc_lo
	v_mov_b32_e32 v22, 5
	global_load_b128 v[16:19], v[16:17], off
	s_waitcnt vmcnt(0)
	v_sub_co_u32 v20, vcc_lo, v16, s8
	v_subrev_co_ci_u32_e32 v21, vcc_lo, 0, v17, vcc_lo
	v_cmp_ne_u64_e64 s3, v[18:19], v[16:17]
	s_delay_alu instid0(VALU_DEP_2) | instskip(SKIP_1) | instid1(VALU_DEP_1)
	v_cmp_lt_i64_e32 vcc_lo, -1, v[20:21]
	v_cmp_gt_i64_e64 s2, s[18:19], v[20:21]
	s_and_b32 s2, vcc_lo, s2
	s_delay_alu instid0(SALU_CYCLE_1)
	s_xor_b32 s2, s2, -1
	s_delay_alu instid0(VALU_DEP_3) | instid1(SALU_CYCLE_1)
	s_or_b32 s2, s3, s2
	s_and_not1_b32 s3, s41, exec_lo
	s_and_b32 s2, s2, exec_lo
	s_delay_alu instid0(SALU_CYCLE_1)
	s_or_b32 s21, s3, s2
.LBB16_12:                              ;   in Loop: Header=BB16_9 Depth=1
	s_or_b32 exec_lo, exec_lo, s20
	s_mov_b32 s2, -1
	s_mov_b32 s3, -1
	s_and_saveexec_b32 s39, s21
	s_cbranch_execz .LBB16_7
; %bb.13:                               ;   in Loop: Header=BB16_9 Depth=1
	s_and_b32 vcc_lo, exec_lo, s26
	s_cbranch_vccz .LBB16_29
; %bb.14:                               ;   in Loop: Header=BB16_9 Depth=1
	s_and_b32 vcc_lo, exec_lo, s34
	s_cbranch_vccz .LBB16_30
; %bb.15:                               ;   in Loop: Header=BB16_9 Depth=1
	v_dual_mov_b32 v17, v1 :: v_dual_mov_b32 v16, v0
	s_mov_b64 s[20:21], 0
	s_mov_b32 s42, 0
                                        ; implicit-def: $sgpr3
                                        ; implicit-def: $sgpr40
                                        ; implicit-def: $sgpr43
	s_branch .LBB16_17
.LBB16_16:                              ;   in Loop: Header=BB16_17 Depth=2
	s_or_b32 exec_lo, exec_lo, s2
	s_xor_b32 s2, s45, -1
	s_and_b32 s22, exec_lo, s44
	s_delay_alu instid0(SALU_CYCLE_1)
	s_or_b32 s42, s22, s42
	s_and_not1_b32 s22, s40, exec_lo
	s_and_b32 s23, s43, exec_lo
	s_and_not1_b32 s3, s3, exec_lo
	s_and_b32 s2, s2, exec_lo
	s_or_b32 s40, s22, s23
	s_or_b32 s3, s3, s2
	s_and_not1_b32 exec_lo, exec_lo, s42
	s_cbranch_execz .LBB16_28
.LBB16_17:                              ;   Parent Loop BB16_9 Depth=1
                                        ; =>  This Loop Header: Depth=2
                                        ;       Child Loop BB16_21 Depth 3
	s_and_not1_b32 vcc_lo, exec_lo, s33
	s_mov_b32 s44, -1
	s_cbranch_vccnz .LBB16_25
; %bb.18:                               ;   in Loop: Header=BB16_17 Depth=2
	v_dual_mov_b32 v19, v17 :: v_dual_mov_b32 v18, v16
	s_mov_b32 s47, 0
	s_mov_b64 s[22:23], s[12:13]
                                        ; implicit-def: $sgpr46
                                        ; implicit-def: $sgpr45
                                        ; implicit-def: $sgpr48
                                        ; implicit-def: $sgpr49
	s_branch .LBB16_21
.LBB16_19:                              ;   in Loop: Header=BB16_21 Depth=3
	s_or_b32 exec_lo, exec_lo, s2
	v_mov_b32_e32 v22, 2
	s_and_not1_b32 s2, s49, exec_lo
	s_and_b32 s49, s53, exec_lo
	s_and_not1_b32 s48, s48, exec_lo
	s_and_b32 s52, s52, exec_lo
	s_or_b32 s49, s2, s49
	s_or_b32 s48, s48, s52
.LBB16_20:                              ;   in Loop: Header=BB16_21 Depth=3
	s_or_b32 exec_lo, exec_lo, s51
	s_xor_b32 s2, s49, -1
	s_and_b32 s51, exec_lo, s48
	s_delay_alu instid0(SALU_CYCLE_1)
	s_or_b32 s47, s51, s47
	s_and_not1_b32 s45, s45, exec_lo
	s_and_b32 s50, s50, exec_lo
	s_and_not1_b32 s46, s46, exec_lo
	s_and_b32 s2, s2, exec_lo
	s_or_b32 s45, s45, s50
	s_or_b32 s46, s46, s2
	s_and_not1_b32 exec_lo, exec_lo, s47
	s_cbranch_execz .LBB16_24
.LBB16_21:                              ;   Parent Loop BB16_9 Depth=1
                                        ;     Parent Loop BB16_17 Depth=2
                                        ; =>    This Inner Loop Header: Depth=3
	global_load_b64 v[20:21], v[18:19], off offset:-4
	v_mov_b32_e32 v22, 1
	s_mov_b32 s50, -1
	s_or_b32 s49, s49, exec_lo
	s_or_b32 s48, s48, exec_lo
	s_waitcnt vmcnt(0)
	v_cmp_neq_f32_e32 vcc_lo, 0x7f800000, v20
	v_cmp_neq_f32_e64 s2, 0x7f800000, v21
	s_delay_alu instid0(VALU_DEP_1) | instskip(NEXT) | instid1(SALU_CYCLE_1)
	s_and_b32 s2, vcc_lo, s2
	s_and_saveexec_b32 s51, s2
	s_delay_alu instid0(SALU_CYCLE_1)
	s_xor_b32 s51, exec_lo, s51
	s_cbranch_execz .LBB16_20
; %bb.22:                               ;   in Loop: Header=BB16_21 Depth=3
	v_cmp_o_f32_e32 vcc_lo, v20, v20
	v_cmp_o_f32_e64 s2, v21, v21
	s_mov_b32 s52, -1
	s_mov_b32 s53, -1
	s_delay_alu instid0(VALU_DEP_1) | instskip(NEXT) | instid1(SALU_CYCLE_1)
	s_and_b32 s54, vcc_lo, s2
	s_and_saveexec_b32 s2, s54
	s_cbranch_execz .LBB16_19
; %bb.23:                               ;   in Loop: Header=BB16_21 Depth=3
	s_add_u32 s22, s22, -1
	s_addc_u32 s23, s23, -1
	v_add_co_u32 v18, vcc_lo, v18, 8
	s_cmp_eq_u64 s[22:23], 0
	v_add_co_ci_u32_e32 v19, vcc_lo, 0, v19, vcc_lo
	s_cselect_b32 s52, -1, 0
	s_xor_b32 s53, exec_lo, -1
	s_or_not1_b32 s52, s52, exec_lo
	s_branch .LBB16_19
.LBB16_24:                              ;   in Loop: Header=BB16_17 Depth=2
	s_or_b32 exec_lo, exec_lo, s47
	s_branch .LBB16_26
.LBB16_25:                              ;   in Loop: Header=BB16_17 Depth=2
	s_mov_b32 s46, -1
                                        ; implicit-def: $sgpr45
                                        ; implicit-def: $vgpr22
.LBB16_26:                              ;   in Loop: Header=BB16_17 Depth=2
	s_and_not1_b32 s2, s43, exec_lo
	s_and_b32 s22, s45, exec_lo
	s_delay_alu instid0(SALU_CYCLE_1)
	s_or_b32 s43, s2, s22
	s_and_saveexec_b32 s2, s46
	s_cbranch_execz .LBB16_16
; %bb.27:                               ;   in Loop: Header=BB16_17 Depth=2
	s_add_u32 s20, s20, 1
	s_addc_u32 s21, s21, 0
	v_add_co_u32 v16, vcc_lo, v16, s10
	s_cmp_eq_u64 s[20:21], s[14:15]
	v_add_co_ci_u32_e32 v17, vcc_lo, s11, v17, vcc_lo
	s_cselect_b32 s22, -1, 0
	s_and_not1_b32 s45, s45, exec_lo
	s_and_not1_b32 s43, s43, exec_lo
	s_or_not1_b32 s44, s22, exec_lo
                                        ; implicit-def: $vgpr22
	s_branch .LBB16_16
.LBB16_28:                              ;   in Loop: Header=BB16_9 Depth=1
	s_or_b32 exec_lo, exec_lo, s42
	s_branch .LBB16_46
.LBB16_29:                              ;   in Loop: Header=BB16_9 Depth=1
	s_mov_b32 s3, 0
	s_mov_b32 s40, -1
	s_and_b32 vcc_lo, exec_lo, s2
	s_cbranch_vccnz .LBB16_31
	s_branch .LBB16_46
.LBB16_30:                              ;   in Loop: Header=BB16_9 Depth=1
	s_mov_b32 s40, -1
	s_branch .LBB16_46
.LBB16_31:                              ;   in Loop: Header=BB16_9 Depth=1
	s_and_b32 vcc_lo, exec_lo, s33
	s_cbranch_vccz .LBB16_50
; %bb.32:                               ;   in Loop: Header=BB16_9 Depth=1
	v_dual_mov_b32 v17, v1 :: v_dual_mov_b32 v16, v0
	s_mov_b64 s[20:21], 0
	s_mov_b32 s42, 0
                                        ; implicit-def: $sgpr3
                                        ; implicit-def: $sgpr40
                                        ; implicit-def: $sgpr43
	s_branch .LBB16_34
.LBB16_33:                              ;   in Loop: Header=BB16_34 Depth=2
	s_or_b32 exec_lo, exec_lo, s2
	s_xor_b32 s2, s45, -1
	s_and_b32 s22, exec_lo, s44
	s_delay_alu instid0(SALU_CYCLE_1)
	s_or_b32 s42, s22, s42
	s_and_not1_b32 s22, s40, exec_lo
	s_and_b32 s23, s43, exec_lo
	s_and_not1_b32 s3, s3, exec_lo
	s_and_b32 s2, s2, exec_lo
	s_or_b32 s40, s22, s23
	s_or_b32 s3, s3, s2
	s_and_not1_b32 exec_lo, exec_lo, s42
	s_cbranch_execz .LBB16_45
.LBB16_34:                              ;   Parent Loop BB16_9 Depth=1
                                        ; =>  This Loop Header: Depth=2
                                        ;       Child Loop BB16_38 Depth 3
	s_and_not1_b32 vcc_lo, exec_lo, s34
	s_mov_b32 s44, -1
	s_cbranch_vccnz .LBB16_42
; %bb.35:                               ;   in Loop: Header=BB16_34 Depth=2
	v_dual_mov_b32 v19, v17 :: v_dual_mov_b32 v18, v16
	s_mov_b32 s47, 0
	s_mov_b64 s[22:23], s[14:15]
                                        ; implicit-def: $sgpr46
                                        ; implicit-def: $sgpr45
                                        ; implicit-def: $sgpr48
                                        ; implicit-def: $sgpr49
	s_branch .LBB16_38
.LBB16_36:                              ;   in Loop: Header=BB16_38 Depth=3
	s_or_b32 exec_lo, exec_lo, s2
	v_mov_b32_e32 v22, 2
	s_and_not1_b32 s2, s49, exec_lo
	s_and_b32 s49, s53, exec_lo
	s_and_not1_b32 s48, s48, exec_lo
	s_and_b32 s52, s52, exec_lo
	s_or_b32 s49, s2, s49
	s_or_b32 s48, s48, s52
.LBB16_37:                              ;   in Loop: Header=BB16_38 Depth=3
	s_or_b32 exec_lo, exec_lo, s51
	s_xor_b32 s2, s49, -1
	s_and_b32 s51, exec_lo, s48
	s_delay_alu instid0(SALU_CYCLE_1)
	s_or_b32 s47, s51, s47
	s_and_not1_b32 s45, s45, exec_lo
	s_and_b32 s50, s50, exec_lo
	s_and_not1_b32 s46, s46, exec_lo
	s_and_b32 s2, s2, exec_lo
	s_or_b32 s45, s45, s50
	s_or_b32 s46, s46, s2
	s_and_not1_b32 exec_lo, exec_lo, s47
	s_cbranch_execz .LBB16_41
.LBB16_38:                              ;   Parent Loop BB16_9 Depth=1
                                        ;     Parent Loop BB16_34 Depth=2
                                        ; =>    This Inner Loop Header: Depth=3
	global_load_b64 v[20:21], v[18:19], off offset:-4
	v_mov_b32_e32 v22, 1
	s_mov_b32 s50, -1
	s_or_b32 s49, s49, exec_lo
	s_or_b32 s48, s48, exec_lo
	s_waitcnt vmcnt(0)
	v_cmp_neq_f32_e32 vcc_lo, 0x7f800000, v20
	v_cmp_neq_f32_e64 s2, 0x7f800000, v21
	s_delay_alu instid0(VALU_DEP_1) | instskip(NEXT) | instid1(SALU_CYCLE_1)
	s_and_b32 s2, vcc_lo, s2
	s_and_saveexec_b32 s51, s2
	s_delay_alu instid0(SALU_CYCLE_1)
	s_xor_b32 s51, exec_lo, s51
	s_cbranch_execz .LBB16_37
; %bb.39:                               ;   in Loop: Header=BB16_38 Depth=3
	v_cmp_o_f32_e32 vcc_lo, v20, v20
	v_cmp_o_f32_e64 s2, v21, v21
	s_mov_b32 s52, -1
	s_mov_b32 s53, -1
	s_delay_alu instid0(VALU_DEP_1) | instskip(NEXT) | instid1(SALU_CYCLE_1)
	s_and_b32 s54, vcc_lo, s2
	s_and_saveexec_b32 s2, s54
	s_cbranch_execz .LBB16_36
; %bb.40:                               ;   in Loop: Header=BB16_38 Depth=3
	s_add_u32 s22, s22, -1
	s_addc_u32 s23, s23, -1
	v_add_co_u32 v18, vcc_lo, v18, 8
	s_cmp_eq_u64 s[22:23], 0
	v_add_co_ci_u32_e32 v19, vcc_lo, 0, v19, vcc_lo
	s_cselect_b32 s52, -1, 0
	s_xor_b32 s53, exec_lo, -1
	s_or_not1_b32 s52, s52, exec_lo
	s_branch .LBB16_36
.LBB16_41:                              ;   in Loop: Header=BB16_34 Depth=2
	s_or_b32 exec_lo, exec_lo, s47
	s_branch .LBB16_43
.LBB16_42:                              ;   in Loop: Header=BB16_34 Depth=2
	s_mov_b32 s46, -1
                                        ; implicit-def: $sgpr45
                                        ; implicit-def: $vgpr22
.LBB16_43:                              ;   in Loop: Header=BB16_34 Depth=2
	s_and_not1_b32 s2, s43, exec_lo
	s_and_b32 s22, s45, exec_lo
	s_delay_alu instid0(SALU_CYCLE_1)
	s_or_b32 s43, s2, s22
	s_and_saveexec_b32 s2, s46
	s_cbranch_execz .LBB16_33
; %bb.44:                               ;   in Loop: Header=BB16_34 Depth=2
	s_add_u32 s20, s20, 1
	s_addc_u32 s21, s21, 0
	v_add_co_u32 v16, vcc_lo, v16, s16
	s_cmp_eq_u64 s[20:21], s[12:13]
	v_add_co_ci_u32_e32 v17, vcc_lo, s17, v17, vcc_lo
	s_cselect_b32 s22, -1, 0
	s_and_not1_b32 s45, s45, exec_lo
	s_and_not1_b32 s43, s43, exec_lo
	s_or_not1_b32 s44, s22, exec_lo
                                        ; implicit-def: $vgpr22
	s_branch .LBB16_33
.LBB16_45:                              ;   in Loop: Header=BB16_9 Depth=1
	s_or_b32 exec_lo, exec_lo, s42
.LBB16_46:                              ;   in Loop: Header=BB16_9 Depth=1
	s_mov_b32 s2, -1
	s_and_saveexec_b32 s20, s3
	s_cbranch_execz .LBB16_6
.LBB16_47:                              ;   in Loop: Header=BB16_9 Depth=1
	s_and_b32 vcc_lo, exec_lo, s9
	s_cbranch_vccz .LBB16_51
; %bb.48:                               ;   in Loop: Header=BB16_9 Depth=1
	s_and_b32 vcc_lo, exec_lo, s27
	s_cbranch_vccz .LBB16_52
; %bb.49:                               ;   in Loop: Header=BB16_9 Depth=1
	v_cmp_ge_i64_e32 vcc_lo, v[14:15], v[4:5]
	v_mov_b32_e32 v22, 7
	s_or_b32 s21, s40, exec_lo
	s_and_b32 s3, vcc_lo, exec_lo
	s_cbranch_execz .LBB16_53
	s_branch .LBB16_54
.LBB16_50:                              ;   in Loop: Header=BB16_9 Depth=1
	s_mov_b32 s3, -1
	s_mov_b32 s2, -1
	s_and_saveexec_b32 s20, s3
	s_cbranch_execz .LBB16_6
	s_branch .LBB16_47
.LBB16_51:                              ;   in Loop: Header=BB16_9 Depth=1
	s_mov_b32 s3, -1
	s_mov_b32 s21, s40
	s_branch .LBB16_54
.LBB16_52:                              ;   in Loop: Header=BB16_9 Depth=1
	s_mov_b32 s3, 0
	s_mov_b32 s21, s40
.LBB16_53:                              ;   in Loop: Header=BB16_9 Depth=1
	v_cmp_le_i64_e32 vcc_lo, v[14:15], v[4:5]
	v_mov_b32_e32 v22, 7
	s_and_not1_b32 s3, s3, exec_lo
	s_or_b32 s21, s21, exec_lo
	s_and_b32 s22, vcc_lo, exec_lo
	s_delay_alu instid0(SALU_CYCLE_1)
	s_or_b32 s3, s3, s22
.LBB16_54:                              ;   in Loop: Header=BB16_9 Depth=1
	s_delay_alu instid0(SALU_CYCLE_1)
	s_and_saveexec_b32 s22, s3
	s_cbranch_execz .LBB16_5
; %bb.55:                               ;   in Loop: Header=BB16_9 Depth=1
	s_or_b32 s23, s28, s41
	s_mov_b32 s3, s21
	s_xor_b32 s2, s23, -1
	s_delay_alu instid0(SALU_CYCLE_1)
	s_and_saveexec_b32 s41, s2
	s_cbranch_execz .LBB16_57
; %bb.56:                               ;   in Loop: Header=BB16_9 Depth=1
	global_load_b64 v[12:13], v[12:13], off offset:-8
	v_mov_b32_e32 v22, 6
	s_and_not1_b32 s23, s23, exec_lo
	s_waitcnt vmcnt(0)
	v_sub_co_u32 v14, vcc_lo, v12, s8
	v_subrev_co_ci_u32_e32 v15, vcc_lo, 0, v13, vcc_lo
	v_cmp_gt_i64_e64 s3, v[10:11], v[12:13]
	s_delay_alu instid0(VALU_DEP_2) | instskip(SKIP_1) | instid1(VALU_DEP_1)
	v_cmp_lt_i64_e32 vcc_lo, -1, v[14:15]
	v_cmp_gt_i64_e64 s2, s[18:19], v[14:15]
	s_and_b32 s2, vcc_lo, s2
	s_delay_alu instid0(SALU_CYCLE_1)
	s_xor_b32 s2, s2, -1
	s_delay_alu instid0(VALU_DEP_3) | instid1(SALU_CYCLE_1)
	s_or_b32 s2, s3, s2
	s_or_b32 s3, s21, exec_lo
	s_and_b32 s2, s2, exec_lo
	s_delay_alu instid0(SALU_CYCLE_1)
	s_or_b32 s23, s23, s2
.LBB16_57:                              ;   in Loop: Header=BB16_9 Depth=1
	s_or_b32 exec_lo, exec_lo, s41
	s_mov_b32 s2, -1
	s_and_saveexec_b32 s41, s23
	s_cbranch_execz .LBB16_4
; %bb.58:                               ;   in Loop: Header=BB16_9 Depth=1
	v_add_co_u32 v2, vcc_lo, v2, 1
	v_add_co_ci_u32_e32 v3, vcc_lo, 0, v3, vcc_lo
	v_add_co_u32 v0, s2, v0, s6
	s_delay_alu instid0(VALU_DEP_1) | instskip(NEXT) | instid1(VALU_DEP_3)
	v_add_co_ci_u32_e64 v1, s2, s7, v1, s2
	v_cmp_ge_i64_e32 vcc_lo, v[2:3], v[6:7]
	s_and_not1_b32 s3, s3, exec_lo
                                        ; implicit-def: $vgpr22
	s_or_not1_b32 s2, vcc_lo, exec_lo
	s_branch .LBB16_4
.LBB16_59:
	s_or_b32 exec_lo, exec_lo, s31
	s_delay_alu instid0(SALU_CYCLE_1)
	s_and_b32 s2, s35, exec_lo
.LBB16_60:
	s_or_b32 exec_lo, exec_lo, s25
	s_delay_alu instid0(SALU_CYCLE_1)
	s_or_not1_b32 s2, s2, exec_lo
.LBB16_61:
	s_or_b32 exec_lo, exec_lo, s24
	s_delay_alu instid0(SALU_CYCLE_1)
	s_and_b32 exec_lo, exec_lo, s2
	s_cbranch_execz .LBB16_63
; %bb.62:
	s_load_b64 s[0:1], s[0:1], 0x60
	v_mov_b32_e32 v0, 0
	s_waitcnt lgkmcnt(0)
	global_store_b32 v0, v22, s[0:1]
.LBB16_63:
	s_nop 0
	s_sendmsg sendmsg(MSG_DEALLOC_VGPRS)
	s_endpgm
	.section	.rodata,"a",@progbits
	.p2align	6, 0x0
	.amdhsa_kernel _ZN9rocsparseL25check_matrix_gebsr_deviceILj256E21rocsparse_complex_numIfEllEEv20rocsparse_direction_T2_S4_T1_S4_S4_PKT0_PKS5_PKS4_SC_21rocsparse_index_base_22rocsparse_matrix_type_20rocsparse_fill_mode_23rocsparse_storage_mode_P22rocsparse_data_status_
		.amdhsa_group_segment_fixed_size 0
		.amdhsa_private_segment_fixed_size 0
		.amdhsa_kernarg_size 104
		.amdhsa_user_sgpr_count 15
		.amdhsa_user_sgpr_dispatch_ptr 0
		.amdhsa_user_sgpr_queue_ptr 0
		.amdhsa_user_sgpr_kernarg_segment_ptr 1
		.amdhsa_user_sgpr_dispatch_id 0
		.amdhsa_user_sgpr_private_segment_size 0
		.amdhsa_wavefront_size32 1
		.amdhsa_uses_dynamic_stack 0
		.amdhsa_enable_private_segment 0
		.amdhsa_system_sgpr_workgroup_id_x 1
		.amdhsa_system_sgpr_workgroup_id_y 0
		.amdhsa_system_sgpr_workgroup_id_z 0
		.amdhsa_system_sgpr_workgroup_info 0
		.amdhsa_system_vgpr_workitem_id 0
		.amdhsa_next_free_vgpr 23
		.amdhsa_next_free_sgpr 55
		.amdhsa_reserve_vcc 1
		.amdhsa_float_round_mode_32 0
		.amdhsa_float_round_mode_16_64 0
		.amdhsa_float_denorm_mode_32 3
		.amdhsa_float_denorm_mode_16_64 3
		.amdhsa_dx10_clamp 1
		.amdhsa_ieee_mode 1
		.amdhsa_fp16_overflow 0
		.amdhsa_workgroup_processor_mode 1
		.amdhsa_memory_ordered 1
		.amdhsa_forward_progress 0
		.amdhsa_shared_vgpr_count 0
		.amdhsa_exception_fp_ieee_invalid_op 0
		.amdhsa_exception_fp_denorm_src 0
		.amdhsa_exception_fp_ieee_div_zero 0
		.amdhsa_exception_fp_ieee_overflow 0
		.amdhsa_exception_fp_ieee_underflow 0
		.amdhsa_exception_fp_ieee_inexact 0
		.amdhsa_exception_int_div_zero 0
	.end_amdhsa_kernel
	.section	.text._ZN9rocsparseL25check_matrix_gebsr_deviceILj256E21rocsparse_complex_numIfEllEEv20rocsparse_direction_T2_S4_T1_S4_S4_PKT0_PKS5_PKS4_SC_21rocsparse_index_base_22rocsparse_matrix_type_20rocsparse_fill_mode_23rocsparse_storage_mode_P22rocsparse_data_status_,"axG",@progbits,_ZN9rocsparseL25check_matrix_gebsr_deviceILj256E21rocsparse_complex_numIfEllEEv20rocsparse_direction_T2_S4_T1_S4_S4_PKT0_PKS5_PKS4_SC_21rocsparse_index_base_22rocsparse_matrix_type_20rocsparse_fill_mode_23rocsparse_storage_mode_P22rocsparse_data_status_,comdat
.Lfunc_end16:
	.size	_ZN9rocsparseL25check_matrix_gebsr_deviceILj256E21rocsparse_complex_numIfEllEEv20rocsparse_direction_T2_S4_T1_S4_S4_PKT0_PKS5_PKS4_SC_21rocsparse_index_base_22rocsparse_matrix_type_20rocsparse_fill_mode_23rocsparse_storage_mode_P22rocsparse_data_status_, .Lfunc_end16-_ZN9rocsparseL25check_matrix_gebsr_deviceILj256E21rocsparse_complex_numIfEllEEv20rocsparse_direction_T2_S4_T1_S4_S4_PKT0_PKS5_PKS4_SC_21rocsparse_index_base_22rocsparse_matrix_type_20rocsparse_fill_mode_23rocsparse_storage_mode_P22rocsparse_data_status_
                                        ; -- End function
	.section	.AMDGPU.csdata,"",@progbits
; Kernel info:
; codeLenInByte = 2100
; NumSgprs: 57
; NumVgprs: 23
; ScratchSize: 0
; MemoryBound: 0
; FloatMode: 240
; IeeeMode: 1
; LDSByteSize: 0 bytes/workgroup (compile time only)
; SGPRBlocks: 7
; VGPRBlocks: 2
; NumSGPRsForWavesPerEU: 57
; NumVGPRsForWavesPerEU: 23
; Occupancy: 16
; WaveLimiterHint : 0
; COMPUTE_PGM_RSRC2:SCRATCH_EN: 0
; COMPUTE_PGM_RSRC2:USER_SGPR: 15
; COMPUTE_PGM_RSRC2:TRAP_HANDLER: 0
; COMPUTE_PGM_RSRC2:TGID_X_EN: 1
; COMPUTE_PGM_RSRC2:TGID_Y_EN: 0
; COMPUTE_PGM_RSRC2:TGID_Z_EN: 0
; COMPUTE_PGM_RSRC2:TIDIG_COMP_CNT: 0
	.section	.text._ZN9rocsparseL25check_matrix_gebsr_deviceILj256E21rocsparse_complex_numIdEllEEv20rocsparse_direction_T2_S4_T1_S4_S4_PKT0_PKS5_PKS4_SC_21rocsparse_index_base_22rocsparse_matrix_type_20rocsparse_fill_mode_23rocsparse_storage_mode_P22rocsparse_data_status_,"axG",@progbits,_ZN9rocsparseL25check_matrix_gebsr_deviceILj256E21rocsparse_complex_numIdEllEEv20rocsparse_direction_T2_S4_T1_S4_S4_PKT0_PKS5_PKS4_SC_21rocsparse_index_base_22rocsparse_matrix_type_20rocsparse_fill_mode_23rocsparse_storage_mode_P22rocsparse_data_status_,comdat
	.globl	_ZN9rocsparseL25check_matrix_gebsr_deviceILj256E21rocsparse_complex_numIdEllEEv20rocsparse_direction_T2_S4_T1_S4_S4_PKT0_PKS5_PKS4_SC_21rocsparse_index_base_22rocsparse_matrix_type_20rocsparse_fill_mode_23rocsparse_storage_mode_P22rocsparse_data_status_ ; -- Begin function _ZN9rocsparseL25check_matrix_gebsr_deviceILj256E21rocsparse_complex_numIdEllEEv20rocsparse_direction_T2_S4_T1_S4_S4_PKT0_PKS5_PKS4_SC_21rocsparse_index_base_22rocsparse_matrix_type_20rocsparse_fill_mode_23rocsparse_storage_mode_P22rocsparse_data_status_
	.p2align	8
	.type	_ZN9rocsparseL25check_matrix_gebsr_deviceILj256E21rocsparse_complex_numIdEllEEv20rocsparse_direction_T2_S4_T1_S4_S4_PKT0_PKS5_PKS4_SC_21rocsparse_index_base_22rocsparse_matrix_type_20rocsparse_fill_mode_23rocsparse_storage_mode_P22rocsparse_data_status_,@function
_ZN9rocsparseL25check_matrix_gebsr_deviceILj256E21rocsparse_complex_numIdEllEEv20rocsparse_direction_T2_S4_T1_S4_S4_PKT0_PKS5_PKS4_SC_21rocsparse_index_base_22rocsparse_matrix_type_20rocsparse_fill_mode_23rocsparse_storage_mode_P22rocsparse_data_status_: ; @_ZN9rocsparseL25check_matrix_gebsr_deviceILj256E21rocsparse_complex_numIdEllEEv20rocsparse_direction_T2_S4_T1_S4_S4_PKT0_PKS5_PKS4_SC_21rocsparse_index_base_22rocsparse_matrix_type_20rocsparse_fill_mode_23rocsparse_storage_mode_P22rocsparse_data_status_
; %bb.0:
	s_load_b128 s[16:19], s[0:1], 0x8
	v_lshl_or_b32 v4, s15, 8, v0
	v_mov_b32_e32 v5, 0
	s_mov_b32 s2, exec_lo
	s_waitcnt lgkmcnt(0)
	s_delay_alu instid0(VALU_DEP_1)
	v_cmpx_gt_i64_e64 s[16:17], v[4:5]
	s_cbranch_execz .LBB17_63
; %bb.1:
	s_load_b64 s[2:3], s[0:1], 0x38
	v_lshlrev_b64 v[0:1], 3, v[4:5]
	v_mov_b32_e32 v24, 3
	s_waitcnt lgkmcnt(0)
	s_delay_alu instid0(VALU_DEP_2) | instskip(NEXT) | instid1(VALU_DEP_3)
	v_add_co_u32 v0, vcc_lo, s2, v0
	v_add_co_ci_u32_e32 v1, vcc_lo, s3, v1, vcc_lo
	s_load_b64 s[2:3], s[2:3], 0x0
	global_load_b128 v[0:3], v[0:1], off
	s_waitcnt vmcnt(0) lgkmcnt(0)
	v_sub_co_u32 v6, vcc_lo, v2, s2
	v_subrev_co_ci_u32_e32 v7, vcc_lo, s3, v3, vcc_lo
	v_sub_co_u32 v8, vcc_lo, v0, s2
	v_subrev_co_ci_u32_e32 v9, vcc_lo, s3, v1, vcc_lo
	s_delay_alu instid0(VALU_DEP_3) | instskip(SKIP_1) | instid1(VALU_DEP_3)
	v_cmp_gt_i64_e32 vcc_lo, 0, v[6:7]
	v_cmp_lt_i64_e64 s2, v[2:3], v[0:1]
	v_cmp_lt_i64_e64 s3, -1, v[8:9]
	s_delay_alu instid0(VALU_DEP_2) | instskip(NEXT) | instid1(SALU_CYCLE_1)
	s_or_b32 s2, vcc_lo, s2
	s_xor_b32 s4, s2, -1
	s_mov_b32 s2, -1
	s_delay_alu instid0(VALU_DEP_1) | instskip(NEXT) | instid1(SALU_CYCLE_1)
	s_and_b32 s3, s3, s4
	s_and_saveexec_b32 s24, s3
	s_cbranch_execz .LBB17_61
; %bb.2:
	v_mov_b32_e32 v24, 3
	s_mov_b32 s2, 0
	s_mov_b32 s25, exec_lo
	v_cmpx_lt_i64_e64 v[0:1], v[2:3]
	s_cbranch_execz .LBB17_60
; %bb.3:
	s_clause 0x3
	s_load_b32 s16, s[0:1], 0x0
	s_load_b128 s[12:15], s[0:1], 0x20
	s_load_b256 s[4:11], s[0:1], 0x40
	s_load_b64 s[2:3], s[0:1], 0x30
	v_dual_mov_b32 v13, v9 :: v_dual_mov_b32 v12, v8
	s_mov_b32 s31, 0
                                        ; implicit-def: $sgpr35
                                        ; implicit-def: $sgpr36
                                        ; implicit-def: $sgpr37
	s_waitcnt lgkmcnt(0)
	s_cmp_lg_u32 s16, 0
	s_mul_i32 s16, s14, s13
	s_cselect_b32 s26, -1, 0
	s_cmp_lg_u32 s9, 0
	s_mul_hi_u32 s17, s14, s12
	s_cselect_b32 s9, -1, 0
	s_cmp_lg_u32 s10, 0
	s_mul_i32 s20, s15, s12
	s_cselect_b32 s27, -1, 0
	s_cmp_lg_u32 s11, 0
	s_mul_i32 s10, s14, s12
	s_cselect_b32 s28, -1, 0
	s_add_u32 s29, s6, -8
	s_addc_u32 s30, s7, -1
	s_add_i32 s6, s17, s16
	v_mul_lo_u32 v2, s10, v9
	s_add_i32 s11, s6, s20
	v_mad_u64_u32 v[0:1], null, s10, v8, 0
	v_mul_lo_u32 v3, s11, v8
	v_cmp_gt_i64_e64 s33, s[12:13], 0
	v_cmp_gt_i64_e64 s34, s[14:15], 0
	s_lshl_b64 s[6:7], s[10:11], 4
	s_lshl_b64 s[10:11], s[12:13], 4
	;; [unrolled: 1-line block ×3, first 2 shown]
	s_delay_alu instid0(VALU_DEP_3) | instskip(NEXT) | instid1(VALU_DEP_1)
	v_add3_u32 v1, v1, v2, v3
	v_lshlrev_b64 v[0:1], 4, v[0:1]
	s_delay_alu instid0(VALU_DEP_1) | instskip(NEXT) | instid1(VALU_DEP_2)
	v_add_co_u32 v0, vcc_lo, v0, s2
	v_add_co_ci_u32_e32 v1, vcc_lo, s3, v1, vcc_lo
	s_delay_alu instid0(VALU_DEP_2) | instskip(NEXT) | instid1(VALU_DEP_2)
	v_add_co_u32 v10, vcc_lo, v0, 8
	v_add_co_ci_u32_e32 v11, vcc_lo, 0, v1, vcc_lo
	s_branch .LBB17_9
.LBB17_4:                               ;   in Loop: Header=BB17_9 Depth=1
	s_or_b32 exec_lo, exec_lo, s41
	s_delay_alu instid0(SALU_CYCLE_1)
	s_and_not1_b32 s21, s21, exec_lo
	s_and_b32 s3, s3, exec_lo
	s_or_not1_b32 s2, s2, exec_lo
	s_or_b32 s21, s21, s3
.LBB17_5:                               ;   in Loop: Header=BB17_9 Depth=1
	s_or_b32 exec_lo, exec_lo, s22
	s_delay_alu instid0(SALU_CYCLE_1)
	s_and_not1_b32 s3, s40, exec_lo
	s_and_b32 s21, s21, exec_lo
	s_or_not1_b32 s2, s2, exec_lo
	s_or_b32 s40, s3, s21
.LBB17_6:                               ;   in Loop: Header=BB17_9 Depth=1
	s_or_b32 exec_lo, exec_lo, s20
	s_delay_alu instid0(SALU_CYCLE_1)
	s_or_not1_b32 s3, s40, exec_lo
	s_or_not1_b32 s2, s2, exec_lo
.LBB17_7:                               ;   in Loop: Header=BB17_9 Depth=1
	s_or_b32 exec_lo, exec_lo, s39
	s_delay_alu instid0(SALU_CYCLE_1)
	s_and_not1_b32 s20, s37, exec_lo
	s_and_b32 s3, s3, exec_lo
	s_and_not1_b32 s21, s36, exec_lo
	s_and_b32 s2, s2, exec_lo
	s_or_b32 s37, s20, s3
	s_or_b32 s36, s21, s2
.LBB17_8:                               ;   in Loop: Header=BB17_9 Depth=1
	s_or_b32 exec_lo, exec_lo, s38
	s_delay_alu instid0(SALU_CYCLE_1) | instskip(NEXT) | instid1(SALU_CYCLE_1)
	s_and_b32 s2, exec_lo, s36
	s_or_b32 s31, s2, s31
	s_and_not1_b32 s2, s35, exec_lo
	s_and_b32 s3, s37, exec_lo
	s_delay_alu instid0(SALU_CYCLE_1)
	s_or_b32 s35, s2, s3
	s_and_not1_b32 exec_lo, exec_lo, s31
	s_cbranch_execz .LBB17_59
.LBB17_9:                               ; =>This Loop Header: Depth=1
                                        ;     Child Loop BB17_34 Depth 2
                                        ;       Child Loop BB17_38 Depth 3
                                        ;     Child Loop BB17_17 Depth 2
                                        ;       Child Loop BB17_21 Depth 3
	v_lshlrev_b64 v[0:1], 3, v[12:13]
	v_mov_b32_e32 v24, 4
	s_or_b32 s37, s37, exec_lo
	s_or_b32 s36, s36, exec_lo
	s_delay_alu instid0(VALU_DEP_2) | instskip(NEXT) | instid1(VALU_DEP_3)
	v_add_co_u32 v16, vcc_lo, s4, v0
	v_add_co_ci_u32_e32 v17, vcc_lo, s5, v1, vcc_lo
	global_load_b64 v[14:15], v[16:17], off
	s_waitcnt vmcnt(0)
	v_sub_co_u32 v18, vcc_lo, v14, s8
	v_subrev_co_ci_u32_e32 v19, vcc_lo, 0, v15, vcc_lo
	s_delay_alu instid0(VALU_DEP_1) | instskip(SKIP_1) | instid1(VALU_DEP_1)
	v_cmp_lt_i64_e32 vcc_lo, -1, v[18:19]
	v_cmp_gt_i64_e64 s2, s[18:19], v[18:19]
	s_and_b32 s2, vcc_lo, s2
	s_delay_alu instid0(SALU_CYCLE_1)
	s_and_saveexec_b32 s38, s2
	s_cbranch_execz .LBB17_8
; %bb.10:                               ;   in Loop: Header=BB17_9 Depth=1
	v_cmp_le_i64_e64 s41, v[12:13], v[8:9]
	v_mov_b32_e32 v24, 4
	s_mov_b32 s20, exec_lo
	s_delay_alu instid0(VALU_DEP_2)
	s_mov_b32 s21, s41
	v_cmpx_gt_i64_e64 v[12:13], v[8:9]
	s_cbranch_execz .LBB17_12
; %bb.11:                               ;   in Loop: Header=BB17_9 Depth=1
	v_add_co_u32 v0, vcc_lo, s29, v0
	v_add_co_ci_u32_e32 v1, vcc_lo, s30, v1, vcc_lo
	v_mov_b32_e32 v24, 5
	global_load_b128 v[0:3], v[0:1], off
	s_waitcnt vmcnt(0)
	v_sub_co_u32 v20, vcc_lo, v0, s8
	v_subrev_co_ci_u32_e32 v21, vcc_lo, 0, v1, vcc_lo
	v_cmp_ne_u64_e64 s3, v[2:3], v[0:1]
	s_delay_alu instid0(VALU_DEP_2) | instskip(SKIP_1) | instid1(VALU_DEP_1)
	v_cmp_lt_i64_e32 vcc_lo, -1, v[20:21]
	v_cmp_gt_i64_e64 s2, s[18:19], v[20:21]
	s_and_b32 s2, vcc_lo, s2
	s_delay_alu instid0(SALU_CYCLE_1)
	s_xor_b32 s2, s2, -1
	s_delay_alu instid0(VALU_DEP_3) | instid1(SALU_CYCLE_1)
	s_or_b32 s2, s3, s2
	s_and_not1_b32 s3, s41, exec_lo
	s_and_b32 s2, s2, exec_lo
	s_delay_alu instid0(SALU_CYCLE_1)
	s_or_b32 s21, s3, s2
.LBB17_12:                              ;   in Loop: Header=BB17_9 Depth=1
	s_or_b32 exec_lo, exec_lo, s20
	s_mov_b32 s2, -1
	s_mov_b32 s3, -1
	s_and_saveexec_b32 s39, s21
	s_cbranch_execz .LBB17_7
; %bb.13:                               ;   in Loop: Header=BB17_9 Depth=1
	s_and_b32 vcc_lo, exec_lo, s26
	s_cbranch_vccz .LBB17_29
; %bb.14:                               ;   in Loop: Header=BB17_9 Depth=1
	s_and_b32 vcc_lo, exec_lo, s34
	s_cbranch_vccz .LBB17_30
; %bb.15:                               ;   in Loop: Header=BB17_9 Depth=1
	v_dual_mov_b32 v21, v11 :: v_dual_mov_b32 v20, v10
	s_mov_b64 s[20:21], 0
	s_mov_b32 s42, 0
                                        ; implicit-def: $sgpr3
                                        ; implicit-def: $sgpr40
                                        ; implicit-def: $sgpr43
	s_branch .LBB17_17
.LBB17_16:                              ;   in Loop: Header=BB17_17 Depth=2
	s_or_b32 exec_lo, exec_lo, s2
	s_xor_b32 s2, s45, -1
	s_and_b32 s22, exec_lo, s44
	s_delay_alu instid0(SALU_CYCLE_1)
	s_or_b32 s42, s22, s42
	s_and_not1_b32 s22, s40, exec_lo
	s_and_b32 s23, s43, exec_lo
	s_and_not1_b32 s3, s3, exec_lo
	s_and_b32 s2, s2, exec_lo
	s_or_b32 s40, s22, s23
	s_or_b32 s3, s3, s2
	s_and_not1_b32 exec_lo, exec_lo, s42
	s_cbranch_execz .LBB17_28
.LBB17_17:                              ;   Parent Loop BB17_9 Depth=1
                                        ; =>  This Loop Header: Depth=2
                                        ;       Child Loop BB17_21 Depth 3
	s_and_not1_b32 vcc_lo, exec_lo, s33
	s_mov_b32 s44, -1
	s_cbranch_vccnz .LBB17_25
; %bb.18:                               ;   in Loop: Header=BB17_17 Depth=2
	v_dual_mov_b32 v23, v21 :: v_dual_mov_b32 v22, v20
	s_mov_b32 s47, 0
	s_mov_b64 s[22:23], s[12:13]
                                        ; implicit-def: $sgpr46
                                        ; implicit-def: $sgpr45
                                        ; implicit-def: $sgpr48
                                        ; implicit-def: $sgpr49
	s_branch .LBB17_21
.LBB17_19:                              ;   in Loop: Header=BB17_21 Depth=3
	s_or_b32 exec_lo, exec_lo, s2
	v_mov_b32_e32 v24, 2
	s_and_not1_b32 s2, s49, exec_lo
	s_and_b32 s49, s53, exec_lo
	s_and_not1_b32 s48, s48, exec_lo
	s_and_b32 s52, s52, exec_lo
	s_or_b32 s49, s2, s49
	s_or_b32 s48, s48, s52
.LBB17_20:                              ;   in Loop: Header=BB17_21 Depth=3
	s_or_b32 exec_lo, exec_lo, s51
	s_xor_b32 s2, s49, -1
	s_and_b32 s51, exec_lo, s48
	s_delay_alu instid0(SALU_CYCLE_1)
	s_or_b32 s47, s51, s47
	s_and_not1_b32 s45, s45, exec_lo
	s_and_b32 s50, s50, exec_lo
	s_and_not1_b32 s46, s46, exec_lo
	s_and_b32 s2, s2, exec_lo
	s_or_b32 s45, s45, s50
	s_or_b32 s46, s46, s2
	s_and_not1_b32 exec_lo, exec_lo, s47
	s_cbranch_execz .LBB17_24
.LBB17_21:                              ;   Parent Loop BB17_9 Depth=1
                                        ;     Parent Loop BB17_17 Depth=2
                                        ; =>    This Inner Loop Header: Depth=3
	global_load_b128 v[0:3], v[22:23], off offset:-8
	v_mov_b32_e32 v24, 1
	s_mov_b32 s50, -1
	s_or_b32 s49, s49, exec_lo
	s_or_b32 s48, s48, exec_lo
	s_waitcnt vmcnt(0)
	v_cmp_neq_f64_e32 vcc_lo, 0x7ff00000, v[0:1]
	v_cmp_neq_f64_e64 s2, 0x7ff00000, v[2:3]
	s_delay_alu instid0(VALU_DEP_1) | instskip(NEXT) | instid1(SALU_CYCLE_1)
	s_and_b32 s2, vcc_lo, s2
	s_and_saveexec_b32 s51, s2
	s_delay_alu instid0(SALU_CYCLE_1)
	s_xor_b32 s51, exec_lo, s51
	s_cbranch_execz .LBB17_20
; %bb.22:                               ;   in Loop: Header=BB17_21 Depth=3
	v_cmp_o_f64_e32 vcc_lo, v[0:1], v[0:1]
	v_cmp_o_f64_e64 s2, v[2:3], v[2:3]
	s_mov_b32 s52, -1
	s_mov_b32 s53, -1
	s_delay_alu instid0(VALU_DEP_1) | instskip(NEXT) | instid1(SALU_CYCLE_1)
	s_and_b32 s54, vcc_lo, s2
	s_and_saveexec_b32 s2, s54
	s_cbranch_execz .LBB17_19
; %bb.23:                               ;   in Loop: Header=BB17_21 Depth=3
	s_add_u32 s22, s22, -1
	s_addc_u32 s23, s23, -1
	v_add_co_u32 v22, vcc_lo, v22, 16
	s_cmp_eq_u64 s[22:23], 0
	v_add_co_ci_u32_e32 v23, vcc_lo, 0, v23, vcc_lo
	s_cselect_b32 s52, -1, 0
	s_xor_b32 s53, exec_lo, -1
	s_or_not1_b32 s52, s52, exec_lo
	s_branch .LBB17_19
.LBB17_24:                              ;   in Loop: Header=BB17_17 Depth=2
	s_or_b32 exec_lo, exec_lo, s47
	s_branch .LBB17_26
.LBB17_25:                              ;   in Loop: Header=BB17_17 Depth=2
	s_mov_b32 s46, -1
                                        ; implicit-def: $sgpr45
                                        ; implicit-def: $vgpr24
.LBB17_26:                              ;   in Loop: Header=BB17_17 Depth=2
	s_and_not1_b32 s2, s43, exec_lo
	s_and_b32 s22, s45, exec_lo
	s_delay_alu instid0(SALU_CYCLE_1)
	s_or_b32 s43, s2, s22
	s_and_saveexec_b32 s2, s46
	s_cbranch_execz .LBB17_16
; %bb.27:                               ;   in Loop: Header=BB17_17 Depth=2
	s_add_u32 s20, s20, 1
	s_addc_u32 s21, s21, 0
	v_add_co_u32 v20, vcc_lo, v20, s10
	s_cmp_eq_u64 s[20:21], s[14:15]
	v_add_co_ci_u32_e32 v21, vcc_lo, s11, v21, vcc_lo
	s_cselect_b32 s22, -1, 0
	s_and_not1_b32 s45, s45, exec_lo
	s_and_not1_b32 s43, s43, exec_lo
	s_or_not1_b32 s44, s22, exec_lo
                                        ; implicit-def: $vgpr24
	s_branch .LBB17_16
.LBB17_28:                              ;   in Loop: Header=BB17_9 Depth=1
	s_or_b32 exec_lo, exec_lo, s42
	s_branch .LBB17_46
.LBB17_29:                              ;   in Loop: Header=BB17_9 Depth=1
	s_mov_b32 s3, 0
	s_mov_b32 s40, -1
	s_and_b32 vcc_lo, exec_lo, s2
	s_cbranch_vccnz .LBB17_31
	s_branch .LBB17_46
.LBB17_30:                              ;   in Loop: Header=BB17_9 Depth=1
	s_mov_b32 s40, -1
	s_branch .LBB17_46
.LBB17_31:                              ;   in Loop: Header=BB17_9 Depth=1
	s_and_b32 vcc_lo, exec_lo, s33
	s_cbranch_vccz .LBB17_50
; %bb.32:                               ;   in Loop: Header=BB17_9 Depth=1
	v_dual_mov_b32 v21, v11 :: v_dual_mov_b32 v20, v10
	s_mov_b64 s[20:21], 0
	s_mov_b32 s42, 0
                                        ; implicit-def: $sgpr3
                                        ; implicit-def: $sgpr40
                                        ; implicit-def: $sgpr43
	s_branch .LBB17_34
.LBB17_33:                              ;   in Loop: Header=BB17_34 Depth=2
	s_or_b32 exec_lo, exec_lo, s2
	s_xor_b32 s2, s45, -1
	s_and_b32 s22, exec_lo, s44
	s_delay_alu instid0(SALU_CYCLE_1)
	s_or_b32 s42, s22, s42
	s_and_not1_b32 s22, s40, exec_lo
	s_and_b32 s23, s43, exec_lo
	s_and_not1_b32 s3, s3, exec_lo
	s_and_b32 s2, s2, exec_lo
	s_or_b32 s40, s22, s23
	s_or_b32 s3, s3, s2
	s_and_not1_b32 exec_lo, exec_lo, s42
	s_cbranch_execz .LBB17_45
.LBB17_34:                              ;   Parent Loop BB17_9 Depth=1
                                        ; =>  This Loop Header: Depth=2
                                        ;       Child Loop BB17_38 Depth 3
	s_and_not1_b32 vcc_lo, exec_lo, s34
	s_mov_b32 s44, -1
	s_cbranch_vccnz .LBB17_42
; %bb.35:                               ;   in Loop: Header=BB17_34 Depth=2
	v_dual_mov_b32 v23, v21 :: v_dual_mov_b32 v22, v20
	s_mov_b32 s47, 0
	s_mov_b64 s[22:23], s[14:15]
                                        ; implicit-def: $sgpr46
                                        ; implicit-def: $sgpr45
                                        ; implicit-def: $sgpr48
                                        ; implicit-def: $sgpr49
	s_branch .LBB17_38
.LBB17_36:                              ;   in Loop: Header=BB17_38 Depth=3
	s_or_b32 exec_lo, exec_lo, s2
	v_mov_b32_e32 v24, 2
	s_and_not1_b32 s2, s49, exec_lo
	s_and_b32 s49, s53, exec_lo
	s_and_not1_b32 s48, s48, exec_lo
	s_and_b32 s52, s52, exec_lo
	s_or_b32 s49, s2, s49
	s_or_b32 s48, s48, s52
.LBB17_37:                              ;   in Loop: Header=BB17_38 Depth=3
	s_or_b32 exec_lo, exec_lo, s51
	s_xor_b32 s2, s49, -1
	s_and_b32 s51, exec_lo, s48
	s_delay_alu instid0(SALU_CYCLE_1)
	s_or_b32 s47, s51, s47
	s_and_not1_b32 s45, s45, exec_lo
	s_and_b32 s50, s50, exec_lo
	s_and_not1_b32 s46, s46, exec_lo
	s_and_b32 s2, s2, exec_lo
	s_or_b32 s45, s45, s50
	s_or_b32 s46, s46, s2
	s_and_not1_b32 exec_lo, exec_lo, s47
	s_cbranch_execz .LBB17_41
.LBB17_38:                              ;   Parent Loop BB17_9 Depth=1
                                        ;     Parent Loop BB17_34 Depth=2
                                        ; =>    This Inner Loop Header: Depth=3
	global_load_b128 v[0:3], v[22:23], off offset:-8
	v_mov_b32_e32 v24, 1
	s_mov_b32 s50, -1
	s_or_b32 s49, s49, exec_lo
	s_or_b32 s48, s48, exec_lo
	s_waitcnt vmcnt(0)
	v_cmp_neq_f64_e32 vcc_lo, 0x7ff00000, v[0:1]
	v_cmp_neq_f64_e64 s2, 0x7ff00000, v[2:3]
	s_delay_alu instid0(VALU_DEP_1) | instskip(NEXT) | instid1(SALU_CYCLE_1)
	s_and_b32 s2, vcc_lo, s2
	s_and_saveexec_b32 s51, s2
	s_delay_alu instid0(SALU_CYCLE_1)
	s_xor_b32 s51, exec_lo, s51
	s_cbranch_execz .LBB17_37
; %bb.39:                               ;   in Loop: Header=BB17_38 Depth=3
	v_cmp_o_f64_e32 vcc_lo, v[0:1], v[0:1]
	v_cmp_o_f64_e64 s2, v[2:3], v[2:3]
	s_mov_b32 s52, -1
	s_mov_b32 s53, -1
	s_delay_alu instid0(VALU_DEP_1) | instskip(NEXT) | instid1(SALU_CYCLE_1)
	s_and_b32 s54, vcc_lo, s2
	s_and_saveexec_b32 s2, s54
	s_cbranch_execz .LBB17_36
; %bb.40:                               ;   in Loop: Header=BB17_38 Depth=3
	s_add_u32 s22, s22, -1
	s_addc_u32 s23, s23, -1
	v_add_co_u32 v22, vcc_lo, v22, 16
	s_cmp_eq_u64 s[22:23], 0
	v_add_co_ci_u32_e32 v23, vcc_lo, 0, v23, vcc_lo
	s_cselect_b32 s52, -1, 0
	s_xor_b32 s53, exec_lo, -1
	s_or_not1_b32 s52, s52, exec_lo
	s_branch .LBB17_36
.LBB17_41:                              ;   in Loop: Header=BB17_34 Depth=2
	s_or_b32 exec_lo, exec_lo, s47
	s_branch .LBB17_43
.LBB17_42:                              ;   in Loop: Header=BB17_34 Depth=2
	s_mov_b32 s46, -1
                                        ; implicit-def: $sgpr45
                                        ; implicit-def: $vgpr24
.LBB17_43:                              ;   in Loop: Header=BB17_34 Depth=2
	s_and_not1_b32 s2, s43, exec_lo
	s_and_b32 s22, s45, exec_lo
	s_delay_alu instid0(SALU_CYCLE_1)
	s_or_b32 s43, s2, s22
	s_and_saveexec_b32 s2, s46
	s_cbranch_execz .LBB17_33
; %bb.44:                               ;   in Loop: Header=BB17_34 Depth=2
	s_add_u32 s20, s20, 1
	s_addc_u32 s21, s21, 0
	v_add_co_u32 v20, vcc_lo, v20, s16
	s_cmp_eq_u64 s[20:21], s[12:13]
	v_add_co_ci_u32_e32 v21, vcc_lo, s17, v21, vcc_lo
	s_cselect_b32 s22, -1, 0
	s_and_not1_b32 s45, s45, exec_lo
	s_and_not1_b32 s43, s43, exec_lo
	s_or_not1_b32 s44, s22, exec_lo
                                        ; implicit-def: $vgpr24
	s_branch .LBB17_33
.LBB17_45:                              ;   in Loop: Header=BB17_9 Depth=1
	s_or_b32 exec_lo, exec_lo, s42
.LBB17_46:                              ;   in Loop: Header=BB17_9 Depth=1
	s_mov_b32 s2, -1
	s_and_saveexec_b32 s20, s3
	s_cbranch_execz .LBB17_6
.LBB17_47:                              ;   in Loop: Header=BB17_9 Depth=1
	s_and_b32 vcc_lo, exec_lo, s9
	s_cbranch_vccz .LBB17_51
; %bb.48:                               ;   in Loop: Header=BB17_9 Depth=1
	s_and_b32 vcc_lo, exec_lo, s27
	s_cbranch_vccz .LBB17_52
; %bb.49:                               ;   in Loop: Header=BB17_9 Depth=1
	v_cmp_ge_i64_e32 vcc_lo, v[18:19], v[4:5]
	v_mov_b32_e32 v24, 7
	s_or_b32 s21, s40, exec_lo
	s_and_b32 s3, vcc_lo, exec_lo
	s_cbranch_execz .LBB17_53
	s_branch .LBB17_54
.LBB17_50:                              ;   in Loop: Header=BB17_9 Depth=1
	s_mov_b32 s3, -1
	s_mov_b32 s2, -1
	s_and_saveexec_b32 s20, s3
	s_cbranch_execz .LBB17_6
	s_branch .LBB17_47
.LBB17_51:                              ;   in Loop: Header=BB17_9 Depth=1
	s_mov_b32 s3, -1
	s_mov_b32 s21, s40
	s_branch .LBB17_54
.LBB17_52:                              ;   in Loop: Header=BB17_9 Depth=1
	s_mov_b32 s3, 0
	s_mov_b32 s21, s40
.LBB17_53:                              ;   in Loop: Header=BB17_9 Depth=1
	v_cmp_le_i64_e32 vcc_lo, v[18:19], v[4:5]
	v_mov_b32_e32 v24, 7
	s_and_not1_b32 s3, s3, exec_lo
	s_or_b32 s21, s21, exec_lo
	s_and_b32 s22, vcc_lo, exec_lo
	s_delay_alu instid0(SALU_CYCLE_1)
	s_or_b32 s3, s3, s22
.LBB17_54:                              ;   in Loop: Header=BB17_9 Depth=1
	s_delay_alu instid0(SALU_CYCLE_1)
	s_and_saveexec_b32 s22, s3
	s_cbranch_execz .LBB17_5
; %bb.55:                               ;   in Loop: Header=BB17_9 Depth=1
	s_or_b32 s23, s28, s41
	s_mov_b32 s3, s21
	s_xor_b32 s2, s23, -1
	s_delay_alu instid0(SALU_CYCLE_1)
	s_and_saveexec_b32 s41, s2
	s_cbranch_execz .LBB17_57
; %bb.56:                               ;   in Loop: Header=BB17_9 Depth=1
	global_load_b64 v[0:1], v[16:17], off offset:-8
	v_mov_b32_e32 v24, 6
	s_and_not1_b32 s23, s23, exec_lo
	s_waitcnt vmcnt(0)
	v_sub_co_u32 v2, vcc_lo, v0, s8
	v_subrev_co_ci_u32_e32 v3, vcc_lo, 0, v1, vcc_lo
	v_cmp_gt_i64_e64 s3, v[14:15], v[0:1]
	s_delay_alu instid0(VALU_DEP_2) | instskip(SKIP_1) | instid1(VALU_DEP_1)
	v_cmp_lt_i64_e32 vcc_lo, -1, v[2:3]
	v_cmp_gt_i64_e64 s2, s[18:19], v[2:3]
	s_and_b32 s2, vcc_lo, s2
	s_delay_alu instid0(SALU_CYCLE_1)
	s_xor_b32 s2, s2, -1
	s_delay_alu instid0(VALU_DEP_3) | instid1(SALU_CYCLE_1)
	s_or_b32 s2, s3, s2
	s_or_b32 s3, s21, exec_lo
	s_and_b32 s2, s2, exec_lo
	s_delay_alu instid0(SALU_CYCLE_1)
	s_or_b32 s23, s23, s2
.LBB17_57:                              ;   in Loop: Header=BB17_9 Depth=1
	s_or_b32 exec_lo, exec_lo, s41
	s_mov_b32 s2, -1
	s_and_saveexec_b32 s41, s23
	s_cbranch_execz .LBB17_4
; %bb.58:                               ;   in Loop: Header=BB17_9 Depth=1
	v_add_co_u32 v12, vcc_lo, v12, 1
	v_add_co_ci_u32_e32 v13, vcc_lo, 0, v13, vcc_lo
	v_add_co_u32 v10, s2, v10, s6
	s_delay_alu instid0(VALU_DEP_1) | instskip(NEXT) | instid1(VALU_DEP_3)
	v_add_co_ci_u32_e64 v11, s2, s7, v11, s2
	v_cmp_ge_i64_e32 vcc_lo, v[12:13], v[6:7]
	s_and_not1_b32 s3, s3, exec_lo
                                        ; implicit-def: $vgpr24
	s_or_not1_b32 s2, vcc_lo, exec_lo
	s_branch .LBB17_4
.LBB17_59:
	s_or_b32 exec_lo, exec_lo, s31
	s_delay_alu instid0(SALU_CYCLE_1)
	s_and_b32 s2, s35, exec_lo
.LBB17_60:
	s_or_b32 exec_lo, exec_lo, s25
	s_delay_alu instid0(SALU_CYCLE_1)
	s_or_not1_b32 s2, s2, exec_lo
.LBB17_61:
	s_or_b32 exec_lo, exec_lo, s24
	s_delay_alu instid0(SALU_CYCLE_1)
	s_and_b32 exec_lo, exec_lo, s2
	s_cbranch_execz .LBB17_63
; %bb.62:
	s_load_b64 s[0:1], s[0:1], 0x60
	v_mov_b32_e32 v0, 0
	s_waitcnt lgkmcnt(0)
	global_store_b32 v0, v24, s[0:1]
.LBB17_63:
	s_nop 0
	s_sendmsg sendmsg(MSG_DEALLOC_VGPRS)
	s_endpgm
	.section	.rodata,"a",@progbits
	.p2align	6, 0x0
	.amdhsa_kernel _ZN9rocsparseL25check_matrix_gebsr_deviceILj256E21rocsparse_complex_numIdEllEEv20rocsparse_direction_T2_S4_T1_S4_S4_PKT0_PKS5_PKS4_SC_21rocsparse_index_base_22rocsparse_matrix_type_20rocsparse_fill_mode_23rocsparse_storage_mode_P22rocsparse_data_status_
		.amdhsa_group_segment_fixed_size 0
		.amdhsa_private_segment_fixed_size 0
		.amdhsa_kernarg_size 104
		.amdhsa_user_sgpr_count 15
		.amdhsa_user_sgpr_dispatch_ptr 0
		.amdhsa_user_sgpr_queue_ptr 0
		.amdhsa_user_sgpr_kernarg_segment_ptr 1
		.amdhsa_user_sgpr_dispatch_id 0
		.amdhsa_user_sgpr_private_segment_size 0
		.amdhsa_wavefront_size32 1
		.amdhsa_uses_dynamic_stack 0
		.amdhsa_enable_private_segment 0
		.amdhsa_system_sgpr_workgroup_id_x 1
		.amdhsa_system_sgpr_workgroup_id_y 0
		.amdhsa_system_sgpr_workgroup_id_z 0
		.amdhsa_system_sgpr_workgroup_info 0
		.amdhsa_system_vgpr_workitem_id 0
		.amdhsa_next_free_vgpr 25
		.amdhsa_next_free_sgpr 55
		.amdhsa_reserve_vcc 1
		.amdhsa_float_round_mode_32 0
		.amdhsa_float_round_mode_16_64 0
		.amdhsa_float_denorm_mode_32 3
		.amdhsa_float_denorm_mode_16_64 3
		.amdhsa_dx10_clamp 1
		.amdhsa_ieee_mode 1
		.amdhsa_fp16_overflow 0
		.amdhsa_workgroup_processor_mode 1
		.amdhsa_memory_ordered 1
		.amdhsa_forward_progress 0
		.amdhsa_shared_vgpr_count 0
		.amdhsa_exception_fp_ieee_invalid_op 0
		.amdhsa_exception_fp_denorm_src 0
		.amdhsa_exception_fp_ieee_div_zero 0
		.amdhsa_exception_fp_ieee_overflow 0
		.amdhsa_exception_fp_ieee_underflow 0
		.amdhsa_exception_fp_ieee_inexact 0
		.amdhsa_exception_int_div_zero 0
	.end_amdhsa_kernel
	.section	.text._ZN9rocsparseL25check_matrix_gebsr_deviceILj256E21rocsparse_complex_numIdEllEEv20rocsparse_direction_T2_S4_T1_S4_S4_PKT0_PKS5_PKS4_SC_21rocsparse_index_base_22rocsparse_matrix_type_20rocsparse_fill_mode_23rocsparse_storage_mode_P22rocsparse_data_status_,"axG",@progbits,_ZN9rocsparseL25check_matrix_gebsr_deviceILj256E21rocsparse_complex_numIdEllEEv20rocsparse_direction_T2_S4_T1_S4_S4_PKT0_PKS5_PKS4_SC_21rocsparse_index_base_22rocsparse_matrix_type_20rocsparse_fill_mode_23rocsparse_storage_mode_P22rocsparse_data_status_,comdat
.Lfunc_end17:
	.size	_ZN9rocsparseL25check_matrix_gebsr_deviceILj256E21rocsparse_complex_numIdEllEEv20rocsparse_direction_T2_S4_T1_S4_S4_PKT0_PKS5_PKS4_SC_21rocsparse_index_base_22rocsparse_matrix_type_20rocsparse_fill_mode_23rocsparse_storage_mode_P22rocsparse_data_status_, .Lfunc_end17-_ZN9rocsparseL25check_matrix_gebsr_deviceILj256E21rocsparse_complex_numIdEllEEv20rocsparse_direction_T2_S4_T1_S4_S4_PKT0_PKS5_PKS4_SC_21rocsparse_index_base_22rocsparse_matrix_type_20rocsparse_fill_mode_23rocsparse_storage_mode_P22rocsparse_data_status_
                                        ; -- End function
	.section	.AMDGPU.csdata,"",@progbits
; Kernel info:
; codeLenInByte = 2100
; NumSgprs: 57
; NumVgprs: 25
; ScratchSize: 0
; MemoryBound: 0
; FloatMode: 240
; IeeeMode: 1
; LDSByteSize: 0 bytes/workgroup (compile time only)
; SGPRBlocks: 7
; VGPRBlocks: 3
; NumSGPRsForWavesPerEU: 57
; NumVGPRsForWavesPerEU: 25
; Occupancy: 16
; WaveLimiterHint : 0
; COMPUTE_PGM_RSRC2:SCRATCH_EN: 0
; COMPUTE_PGM_RSRC2:USER_SGPR: 15
; COMPUTE_PGM_RSRC2:TRAP_HANDLER: 0
; COMPUTE_PGM_RSRC2:TGID_X_EN: 1
; COMPUTE_PGM_RSRC2:TGID_Y_EN: 0
; COMPUTE_PGM_RSRC2:TGID_Z_EN: 0
; COMPUTE_PGM_RSRC2:TIDIG_COMP_CNT: 0
	.text
	.p2alignl 7, 3214868480
	.fill 96, 4, 3214868480
	.type	__hip_cuid_1ae353540b0d1186,@object ; @__hip_cuid_1ae353540b0d1186
	.section	.bss,"aw",@nobits
	.globl	__hip_cuid_1ae353540b0d1186
__hip_cuid_1ae353540b0d1186:
	.byte	0                               ; 0x0
	.size	__hip_cuid_1ae353540b0d1186, 1

	.ident	"AMD clang version 19.0.0git (https://github.com/RadeonOpenCompute/llvm-project roc-6.4.0 25133 c7fe45cf4b819c5991fe208aaa96edf142730f1d)"
	.section	".note.GNU-stack","",@progbits
	.addrsig
	.addrsig_sym __hip_cuid_1ae353540b0d1186
	.amdgpu_metadata
---
amdhsa.kernels:
  - .args:
      - .offset:         0
        .size:           4
        .value_kind:     by_value
      - .actual_access:  read_only
        .address_space:  global
        .offset:         8
        .size:           8
        .value_kind:     global_buffer
      - .address_space:  global
        .offset:         16
        .size:           8
        .value_kind:     global_buffer
    .group_segment_fixed_size: 0
    .kernarg_segment_align: 8
    .kernarg_segment_size: 24
    .language:       OpenCL C
    .language_version:
      - 2
      - 0
    .max_flat_workgroup_size: 256
    .name:           _ZN9rocsparseL19check_row_ptr_arrayILj256EiiEEvT1_PKT0_P22rocsparse_data_status_
    .private_segment_fixed_size: 0
    .sgpr_count:     18
    .sgpr_spill_count: 0
    .symbol:         _ZN9rocsparseL19check_row_ptr_arrayILj256EiiEEvT1_PKT0_P22rocsparse_data_status_.kd
    .uniform_work_group_size: 1
    .uses_dynamic_stack: false
    .vgpr_count:     3
    .vgpr_spill_count: 0
    .wavefront_size: 32
    .workgroup_processor_mode: 1
  - .args:
      - .offset:         0
        .size:           4
        .value_kind:     by_value
      - .actual_access:  read_only
        .address_space:  global
        .offset:         8
        .size:           8
        .value_kind:     global_buffer
      - .actual_access:  write_only
        .address_space:  global
        .offset:         16
        .size:           8
        .value_kind:     global_buffer
    .group_segment_fixed_size: 0
    .kernarg_segment_align: 8
    .kernarg_segment_size: 24
    .language:       OpenCL C
    .language_version:
      - 2
      - 0
    .max_flat_workgroup_size: 512
    .name:           _ZN9rocsparseL20shift_offsets_kernelILj512EiiEEvT1_PKT0_PS2_
    .private_segment_fixed_size: 0
    .sgpr_count:     18
    .sgpr_spill_count: 0
    .symbol:         _ZN9rocsparseL20shift_offsets_kernelILj512EiiEEvT1_PKT0_PS2_.kd
    .uniform_work_group_size: 1
    .uses_dynamic_stack: false
    .vgpr_count:     4
    .vgpr_spill_count: 0
    .wavefront_size: 32
    .workgroup_processor_mode: 1
  - .args:
      - .offset:         0
        .size:           4
        .value_kind:     by_value
      - .offset:         4
        .size:           4
        .value_kind:     by_value
      - .offset:         8
        .size:           4
        .value_kind:     by_value
      - .offset:         12
        .size:           4
        .value_kind:     by_value
      - .offset:         16
        .size:           4
        .value_kind:     by_value
      - .offset:         20
        .size:           4
        .value_kind:     by_value
      - .actual_access:  read_only
        .address_space:  global
        .offset:         24
        .size:           8
        .value_kind:     global_buffer
      - .actual_access:  read_only
        .address_space:  global
        .offset:         32
        .size:           8
        .value_kind:     global_buffer
      - .address_space:  global
        .offset:         40
        .size:           8
        .value_kind:     global_buffer
      - .address_space:  global
        .offset:         48
        .size:           8
        .value_kind:     global_buffer
      - .offset:         56
        .size:           4
        .value_kind:     by_value
      - .offset:         60
        .size:           4
        .value_kind:     by_value
      - .offset:         64
        .size:           4
        .value_kind:     by_value
      - .offset:         68
        .size:           4
        .value_kind:     by_value
      - .address_space:  global
        .offset:         72
        .size:           8
        .value_kind:     global_buffer
    .group_segment_fixed_size: 0
    .kernarg_segment_align: 8
    .kernarg_segment_size: 80
    .language:       OpenCL C
    .language_version:
      - 2
      - 0
    .max_flat_workgroup_size: 256
    .name:           _ZN9rocsparseL25check_matrix_gebsr_deviceILj256EfiiEEv20rocsparse_direction_T2_S2_T1_S2_S2_PKT0_PKS3_PKS2_SA_21rocsparse_index_base_22rocsparse_matrix_type_20rocsparse_fill_mode_23rocsparse_storage_mode_P22rocsparse_data_status_
    .private_segment_fixed_size: 0
    .sgpr_count:     49
    .sgpr_spill_count: 0
    .symbol:         _ZN9rocsparseL25check_matrix_gebsr_deviceILj256EfiiEEv20rocsparse_direction_T2_S2_T1_S2_S2_PKT0_PKS3_PKS2_SA_21rocsparse_index_base_22rocsparse_matrix_type_20rocsparse_fill_mode_23rocsparse_storage_mode_P22rocsparse_data_status_.kd
    .uniform_work_group_size: 1
    .uses_dynamic_stack: false
    .vgpr_count:     15
    .vgpr_spill_count: 0
    .wavefront_size: 32
    .workgroup_processor_mode: 1
  - .args:
      - .offset:         0
        .size:           4
        .value_kind:     by_value
      - .offset:         4
        .size:           4
        .value_kind:     by_value
      - .offset:         8
        .size:           4
        .value_kind:     by_value
      - .offset:         12
        .size:           4
        .value_kind:     by_value
      - .offset:         16
        .size:           4
        .value_kind:     by_value
      - .offset:         20
        .size:           4
        .value_kind:     by_value
      - .actual_access:  read_only
        .address_space:  global
        .offset:         24
        .size:           8
        .value_kind:     global_buffer
      - .actual_access:  read_only
        .address_space:  global
        .offset:         32
        .size:           8
        .value_kind:     global_buffer
      - .address_space:  global
        .offset:         40
        .size:           8
        .value_kind:     global_buffer
      - .address_space:  global
        .offset:         48
        .size:           8
        .value_kind:     global_buffer
      - .offset:         56
        .size:           4
        .value_kind:     by_value
      - .offset:         60
        .size:           4
        .value_kind:     by_value
      - .offset:         64
        .size:           4
        .value_kind:     by_value
      - .offset:         68
        .size:           4
        .value_kind:     by_value
      - .address_space:  global
        .offset:         72
        .size:           8
        .value_kind:     global_buffer
    .group_segment_fixed_size: 0
    .kernarg_segment_align: 8
    .kernarg_segment_size: 80
    .language:       OpenCL C
    .language_version:
      - 2
      - 0
    .max_flat_workgroup_size: 256
    .name:           _ZN9rocsparseL25check_matrix_gebsr_deviceILj256EdiiEEv20rocsparse_direction_T2_S2_T1_S2_S2_PKT0_PKS3_PKS2_SA_21rocsparse_index_base_22rocsparse_matrix_type_20rocsparse_fill_mode_23rocsparse_storage_mode_P22rocsparse_data_status_
    .private_segment_fixed_size: 0
    .sgpr_count:     49
    .sgpr_spill_count: 0
    .symbol:         _ZN9rocsparseL25check_matrix_gebsr_deviceILj256EdiiEEv20rocsparse_direction_T2_S2_T1_S2_S2_PKT0_PKS3_PKS2_SA_21rocsparse_index_base_22rocsparse_matrix_type_20rocsparse_fill_mode_23rocsparse_storage_mode_P22rocsparse_data_status_.kd
    .uniform_work_group_size: 1
    .uses_dynamic_stack: false
    .vgpr_count:     16
    .vgpr_spill_count: 0
    .wavefront_size: 32
    .workgroup_processor_mode: 1
  - .args:
      - .offset:         0
        .size:           4
        .value_kind:     by_value
      - .offset:         4
        .size:           4
        .value_kind:     by_value
      - .offset:         8
        .size:           4
        .value_kind:     by_value
      - .offset:         12
        .size:           4
        .value_kind:     by_value
      - .offset:         16
        .size:           4
        .value_kind:     by_value
      - .offset:         20
        .size:           4
        .value_kind:     by_value
      - .actual_access:  read_only
        .address_space:  global
        .offset:         24
        .size:           8
        .value_kind:     global_buffer
      - .actual_access:  read_only
        .address_space:  global
        .offset:         32
        .size:           8
        .value_kind:     global_buffer
      - .address_space:  global
        .offset:         40
        .size:           8
        .value_kind:     global_buffer
      - .address_space:  global
        .offset:         48
        .size:           8
        .value_kind:     global_buffer
      - .offset:         56
        .size:           4
        .value_kind:     by_value
      - .offset:         60
        .size:           4
        .value_kind:     by_value
      - .offset:         64
        .size:           4
        .value_kind:     by_value
      - .offset:         68
        .size:           4
        .value_kind:     by_value
      - .address_space:  global
        .offset:         72
        .size:           8
        .value_kind:     global_buffer
    .group_segment_fixed_size: 0
    .kernarg_segment_align: 8
    .kernarg_segment_size: 80
    .language:       OpenCL C
    .language_version:
      - 2
      - 0
    .max_flat_workgroup_size: 256
    .name:           _ZN9rocsparseL25check_matrix_gebsr_deviceILj256E21rocsparse_complex_numIfEiiEEv20rocsparse_direction_T2_S4_T1_S4_S4_PKT0_PKS5_PKS4_SC_21rocsparse_index_base_22rocsparse_matrix_type_20rocsparse_fill_mode_23rocsparse_storage_mode_P22rocsparse_data_status_
    .private_segment_fixed_size: 0
    .sgpr_count:     52
    .sgpr_spill_count: 0
    .symbol:         _ZN9rocsparseL25check_matrix_gebsr_deviceILj256E21rocsparse_complex_numIfEiiEEv20rocsparse_direction_T2_S4_T1_S4_S4_PKT0_PKS5_PKS4_SC_21rocsparse_index_base_22rocsparse_matrix_type_20rocsparse_fill_mode_23rocsparse_storage_mode_P22rocsparse_data_status_.kd
    .uniform_work_group_size: 1
    .uses_dynamic_stack: false
    .vgpr_count:     14
    .vgpr_spill_count: 0
    .wavefront_size: 32
    .workgroup_processor_mode: 1
  - .args:
      - .offset:         0
        .size:           4
        .value_kind:     by_value
      - .offset:         4
        .size:           4
        .value_kind:     by_value
      - .offset:         8
        .size:           4
        .value_kind:     by_value
      - .offset:         12
        .size:           4
        .value_kind:     by_value
      - .offset:         16
        .size:           4
        .value_kind:     by_value
      - .offset:         20
        .size:           4
        .value_kind:     by_value
      - .actual_access:  read_only
        .address_space:  global
        .offset:         24
        .size:           8
        .value_kind:     global_buffer
      - .actual_access:  read_only
        .address_space:  global
        .offset:         32
        .size:           8
        .value_kind:     global_buffer
      - .address_space:  global
        .offset:         40
        .size:           8
        .value_kind:     global_buffer
      - .address_space:  global
        .offset:         48
        .size:           8
        .value_kind:     global_buffer
      - .offset:         56
        .size:           4
        .value_kind:     by_value
      - .offset:         60
        .size:           4
        .value_kind:     by_value
      - .offset:         64
        .size:           4
        .value_kind:     by_value
      - .offset:         68
        .size:           4
        .value_kind:     by_value
      - .address_space:  global
        .offset:         72
        .size:           8
        .value_kind:     global_buffer
    .group_segment_fixed_size: 0
    .kernarg_segment_align: 8
    .kernarg_segment_size: 80
    .language:       OpenCL C
    .language_version:
      - 2
      - 0
    .max_flat_workgroup_size: 256
    .name:           _ZN9rocsparseL25check_matrix_gebsr_deviceILj256E21rocsparse_complex_numIdEiiEEv20rocsparse_direction_T2_S4_T1_S4_S4_PKT0_PKS5_PKS4_SC_21rocsparse_index_base_22rocsparse_matrix_type_20rocsparse_fill_mode_23rocsparse_storage_mode_P22rocsparse_data_status_
    .private_segment_fixed_size: 0
    .sgpr_count:     52
    .sgpr_spill_count: 0
    .symbol:         _ZN9rocsparseL25check_matrix_gebsr_deviceILj256E21rocsparse_complex_numIdEiiEEv20rocsparse_direction_T2_S4_T1_S4_S4_PKT0_PKS5_PKS4_SC_21rocsparse_index_base_22rocsparse_matrix_type_20rocsparse_fill_mode_23rocsparse_storage_mode_P22rocsparse_data_status_.kd
    .uniform_work_group_size: 1
    .uses_dynamic_stack: false
    .vgpr_count:     16
    .vgpr_spill_count: 0
    .wavefront_size: 32
    .workgroup_processor_mode: 1
  - .args:
      - .offset:         0
        .size:           4
        .value_kind:     by_value
      - .actual_access:  read_only
        .address_space:  global
        .offset:         8
        .size:           8
        .value_kind:     global_buffer
      - .address_space:  global
        .offset:         16
        .size:           8
        .value_kind:     global_buffer
    .group_segment_fixed_size: 0
    .kernarg_segment_align: 8
    .kernarg_segment_size: 24
    .language:       OpenCL C
    .language_version:
      - 2
      - 0
    .max_flat_workgroup_size: 256
    .name:           _ZN9rocsparseL19check_row_ptr_arrayILj256EliEEvT1_PKT0_P22rocsparse_data_status_
    .private_segment_fixed_size: 0
    .sgpr_count:     18
    .sgpr_spill_count: 0
    .symbol:         _ZN9rocsparseL19check_row_ptr_arrayILj256EliEEvT1_PKT0_P22rocsparse_data_status_.kd
    .uniform_work_group_size: 1
    .uses_dynamic_stack: false
    .vgpr_count:     4
    .vgpr_spill_count: 0
    .wavefront_size: 32
    .workgroup_processor_mode: 1
  - .args:
      - .offset:         0
        .size:           4
        .value_kind:     by_value
      - .actual_access:  read_only
        .address_space:  global
        .offset:         8
        .size:           8
        .value_kind:     global_buffer
      - .actual_access:  write_only
        .address_space:  global
        .offset:         16
        .size:           8
        .value_kind:     global_buffer
    .group_segment_fixed_size: 0
    .kernarg_segment_align: 8
    .kernarg_segment_size: 24
    .language:       OpenCL C
    .language_version:
      - 2
      - 0
    .max_flat_workgroup_size: 512
    .name:           _ZN9rocsparseL20shift_offsets_kernelILj512EliEEvT1_PKT0_PS2_
    .private_segment_fixed_size: 0
    .sgpr_count:     18
    .sgpr_spill_count: 0
    .symbol:         _ZN9rocsparseL20shift_offsets_kernelILj512EliEEvT1_PKT0_PS2_.kd
    .uniform_work_group_size: 1
    .uses_dynamic_stack: false
    .vgpr_count:     4
    .vgpr_spill_count: 0
    .wavefront_size: 32
    .workgroup_processor_mode: 1
  - .args:
      - .offset:         0
        .size:           4
        .value_kind:     by_value
      - .offset:         4
        .size:           4
        .value_kind:     by_value
      - .offset:         8
        .size:           4
        .value_kind:     by_value
      - .offset:         16
        .size:           8
        .value_kind:     by_value
      - .offset:         24
        .size:           4
        .value_kind:     by_value
      - .offset:         28
        .size:           4
        .value_kind:     by_value
      - .actual_access:  read_only
        .address_space:  global
        .offset:         32
        .size:           8
        .value_kind:     global_buffer
      - .actual_access:  read_only
        .address_space:  global
        .offset:         40
        .size:           8
        .value_kind:     global_buffer
      - .address_space:  global
        .offset:         48
        .size:           8
        .value_kind:     global_buffer
      - .address_space:  global
        .offset:         56
        .size:           8
        .value_kind:     global_buffer
      - .offset:         64
        .size:           4
        .value_kind:     by_value
      - .offset:         68
        .size:           4
        .value_kind:     by_value
      - .offset:         72
        .size:           4
        .value_kind:     by_value
      - .offset:         76
        .size:           4
        .value_kind:     by_value
      - .address_space:  global
        .offset:         80
        .size:           8
        .value_kind:     global_buffer
    .group_segment_fixed_size: 0
    .kernarg_segment_align: 8
    .kernarg_segment_size: 88
    .language:       OpenCL C
    .language_version:
      - 2
      - 0
    .max_flat_workgroup_size: 256
    .name:           _ZN9rocsparseL25check_matrix_gebsr_deviceILj256EfliEEv20rocsparse_direction_T2_S2_T1_S2_S2_PKT0_PKS3_PKS2_SA_21rocsparse_index_base_22rocsparse_matrix_type_20rocsparse_fill_mode_23rocsparse_storage_mode_P22rocsparse_data_status_
    .private_segment_fixed_size: 0
    .sgpr_count:     49
    .sgpr_spill_count: 0
    .symbol:         _ZN9rocsparseL25check_matrix_gebsr_deviceILj256EfliEEv20rocsparse_direction_T2_S2_T1_S2_S2_PKT0_PKS3_PKS2_SA_21rocsparse_index_base_22rocsparse_matrix_type_20rocsparse_fill_mode_23rocsparse_storage_mode_P22rocsparse_data_status_.kd
    .uniform_work_group_size: 1
    .uses_dynamic_stack: false
    .vgpr_count:     17
    .vgpr_spill_count: 0
    .wavefront_size: 32
    .workgroup_processor_mode: 1
  - .args:
      - .offset:         0
        .size:           4
        .value_kind:     by_value
      - .offset:         4
        .size:           4
        .value_kind:     by_value
      - .offset:         8
        .size:           4
        .value_kind:     by_value
      - .offset:         16
        .size:           8
        .value_kind:     by_value
      - .offset:         24
        .size:           4
        .value_kind:     by_value
      - .offset:         28
        .size:           4
        .value_kind:     by_value
      - .actual_access:  read_only
        .address_space:  global
        .offset:         32
        .size:           8
        .value_kind:     global_buffer
      - .actual_access:  read_only
        .address_space:  global
        .offset:         40
        .size:           8
        .value_kind:     global_buffer
      - .address_space:  global
        .offset:         48
        .size:           8
        .value_kind:     global_buffer
      - .address_space:  global
        .offset:         56
        .size:           8
        .value_kind:     global_buffer
      - .offset:         64
        .size:           4
        .value_kind:     by_value
      - .offset:         68
        .size:           4
        .value_kind:     by_value
      - .offset:         72
        .size:           4
        .value_kind:     by_value
      - .offset:         76
        .size:           4
        .value_kind:     by_value
      - .address_space:  global
        .offset:         80
        .size:           8
        .value_kind:     global_buffer
    .group_segment_fixed_size: 0
    .kernarg_segment_align: 8
    .kernarg_segment_size: 88
    .language:       OpenCL C
    .language_version:
      - 2
      - 0
    .max_flat_workgroup_size: 256
    .name:           _ZN9rocsparseL25check_matrix_gebsr_deviceILj256EdliEEv20rocsparse_direction_T2_S2_T1_S2_S2_PKT0_PKS3_PKS2_SA_21rocsparse_index_base_22rocsparse_matrix_type_20rocsparse_fill_mode_23rocsparse_storage_mode_P22rocsparse_data_status_
    .private_segment_fixed_size: 0
    .sgpr_count:     49
    .sgpr_spill_count: 0
    .symbol:         _ZN9rocsparseL25check_matrix_gebsr_deviceILj256EdliEEv20rocsparse_direction_T2_S2_T1_S2_S2_PKT0_PKS3_PKS2_SA_21rocsparse_index_base_22rocsparse_matrix_type_20rocsparse_fill_mode_23rocsparse_storage_mode_P22rocsparse_data_status_.kd
    .uniform_work_group_size: 1
    .uses_dynamic_stack: false
    .vgpr_count:     18
    .vgpr_spill_count: 0
    .wavefront_size: 32
    .workgroup_processor_mode: 1
  - .args:
      - .offset:         0
        .size:           4
        .value_kind:     by_value
      - .offset:         4
        .size:           4
        .value_kind:     by_value
      - .offset:         8
        .size:           4
        .value_kind:     by_value
      - .offset:         16
        .size:           8
        .value_kind:     by_value
      - .offset:         24
        .size:           4
        .value_kind:     by_value
      - .offset:         28
        .size:           4
        .value_kind:     by_value
      - .actual_access:  read_only
        .address_space:  global
        .offset:         32
        .size:           8
        .value_kind:     global_buffer
      - .actual_access:  read_only
        .address_space:  global
        .offset:         40
        .size:           8
        .value_kind:     global_buffer
      - .address_space:  global
        .offset:         48
        .size:           8
        .value_kind:     global_buffer
      - .address_space:  global
        .offset:         56
        .size:           8
        .value_kind:     global_buffer
      - .offset:         64
        .size:           4
        .value_kind:     by_value
      - .offset:         68
        .size:           4
        .value_kind:     by_value
      - .offset:         72
        .size:           4
        .value_kind:     by_value
      - .offset:         76
        .size:           4
        .value_kind:     by_value
      - .address_space:  global
        .offset:         80
        .size:           8
        .value_kind:     global_buffer
    .group_segment_fixed_size: 0
    .kernarg_segment_align: 8
    .kernarg_segment_size: 88
    .language:       OpenCL C
    .language_version:
      - 2
      - 0
    .max_flat_workgroup_size: 256
    .name:           _ZN9rocsparseL25check_matrix_gebsr_deviceILj256E21rocsparse_complex_numIfEliEEv20rocsparse_direction_T2_S4_T1_S4_S4_PKT0_PKS5_PKS4_SC_21rocsparse_index_base_22rocsparse_matrix_type_20rocsparse_fill_mode_23rocsparse_storage_mode_P22rocsparse_data_status_
    .private_segment_fixed_size: 0
    .sgpr_count:     52
    .sgpr_spill_count: 0
    .symbol:         _ZN9rocsparseL25check_matrix_gebsr_deviceILj256E21rocsparse_complex_numIfEliEEv20rocsparse_direction_T2_S4_T1_S4_S4_PKT0_PKS5_PKS4_SC_21rocsparse_index_base_22rocsparse_matrix_type_20rocsparse_fill_mode_23rocsparse_storage_mode_P22rocsparse_data_status_.kd
    .uniform_work_group_size: 1
    .uses_dynamic_stack: false
    .vgpr_count:     16
    .vgpr_spill_count: 0
    .wavefront_size: 32
    .workgroup_processor_mode: 1
  - .args:
      - .offset:         0
        .size:           4
        .value_kind:     by_value
      - .offset:         4
        .size:           4
        .value_kind:     by_value
      - .offset:         8
        .size:           4
        .value_kind:     by_value
      - .offset:         16
        .size:           8
        .value_kind:     by_value
      - .offset:         24
        .size:           4
        .value_kind:     by_value
      - .offset:         28
        .size:           4
        .value_kind:     by_value
      - .actual_access:  read_only
        .address_space:  global
        .offset:         32
        .size:           8
        .value_kind:     global_buffer
      - .actual_access:  read_only
        .address_space:  global
        .offset:         40
        .size:           8
        .value_kind:     global_buffer
      - .address_space:  global
        .offset:         48
        .size:           8
        .value_kind:     global_buffer
      - .address_space:  global
        .offset:         56
        .size:           8
        .value_kind:     global_buffer
      - .offset:         64
        .size:           4
        .value_kind:     by_value
      - .offset:         68
        .size:           4
        .value_kind:     by_value
      - .offset:         72
        .size:           4
        .value_kind:     by_value
      - .offset:         76
        .size:           4
        .value_kind:     by_value
      - .address_space:  global
        .offset:         80
        .size:           8
        .value_kind:     global_buffer
    .group_segment_fixed_size: 0
    .kernarg_segment_align: 8
    .kernarg_segment_size: 88
    .language:       OpenCL C
    .language_version:
      - 2
      - 0
    .max_flat_workgroup_size: 256
    .name:           _ZN9rocsparseL25check_matrix_gebsr_deviceILj256E21rocsparse_complex_numIdEliEEv20rocsparse_direction_T2_S4_T1_S4_S4_PKT0_PKS5_PKS4_SC_21rocsparse_index_base_22rocsparse_matrix_type_20rocsparse_fill_mode_23rocsparse_storage_mode_P22rocsparse_data_status_
    .private_segment_fixed_size: 0
    .sgpr_count:     52
    .sgpr_spill_count: 0
    .symbol:         _ZN9rocsparseL25check_matrix_gebsr_deviceILj256E21rocsparse_complex_numIdEliEEv20rocsparse_direction_T2_S4_T1_S4_S4_PKT0_PKS5_PKS4_SC_21rocsparse_index_base_22rocsparse_matrix_type_20rocsparse_fill_mode_23rocsparse_storage_mode_P22rocsparse_data_status_.kd
    .uniform_work_group_size: 1
    .uses_dynamic_stack: false
    .vgpr_count:     18
    .vgpr_spill_count: 0
    .wavefront_size: 32
    .workgroup_processor_mode: 1
  - .args:
      - .offset:         0
        .size:           8
        .value_kind:     by_value
      - .actual_access:  read_only
        .address_space:  global
        .offset:         8
        .size:           8
        .value_kind:     global_buffer
      - .address_space:  global
        .offset:         16
        .size:           8
        .value_kind:     global_buffer
    .group_segment_fixed_size: 0
    .kernarg_segment_align: 8
    .kernarg_segment_size: 24
    .language:       OpenCL C
    .language_version:
      - 2
      - 0
    .max_flat_workgroup_size: 256
    .name:           _ZN9rocsparseL19check_row_ptr_arrayILj256EllEEvT1_PKT0_P22rocsparse_data_status_
    .private_segment_fixed_size: 0
    .sgpr_count:     18
    .sgpr_spill_count: 0
    .symbol:         _ZN9rocsparseL19check_row_ptr_arrayILj256EllEEvT1_PKT0_P22rocsparse_data_status_.kd
    .uniform_work_group_size: 1
    .uses_dynamic_stack: false
    .vgpr_count:     4
    .vgpr_spill_count: 0
    .wavefront_size: 32
    .workgroup_processor_mode: 1
  - .args:
      - .offset:         0
        .size:           8
        .value_kind:     by_value
      - .actual_access:  read_only
        .address_space:  global
        .offset:         8
        .size:           8
        .value_kind:     global_buffer
      - .actual_access:  write_only
        .address_space:  global
        .offset:         16
        .size:           8
        .value_kind:     global_buffer
    .group_segment_fixed_size: 0
    .kernarg_segment_align: 8
    .kernarg_segment_size: 24
    .language:       OpenCL C
    .language_version:
      - 2
      - 0
    .max_flat_workgroup_size: 512
    .name:           _ZN9rocsparseL20shift_offsets_kernelILj512EllEEvT1_PKT0_PS2_
    .private_segment_fixed_size: 0
    .sgpr_count:     18
    .sgpr_spill_count: 0
    .symbol:         _ZN9rocsparseL20shift_offsets_kernelILj512EllEEvT1_PKT0_PS2_.kd
    .uniform_work_group_size: 1
    .uses_dynamic_stack: false
    .vgpr_count:     4
    .vgpr_spill_count: 0
    .wavefront_size: 32
    .workgroup_processor_mode: 1
  - .args:
      - .offset:         0
        .size:           4
        .value_kind:     by_value
      - .offset:         8
        .size:           8
        .value_kind:     by_value
      - .offset:         16
        .size:           8
        .value_kind:     by_value
      - .offset:         24
        .size:           8
        .value_kind:     by_value
      - .offset:         32
        .size:           8
        .value_kind:     by_value
      - .offset:         40
        .size:           8
        .value_kind:     by_value
      - .actual_access:  read_only
        .address_space:  global
        .offset:         48
        .size:           8
        .value_kind:     global_buffer
      - .actual_access:  read_only
        .address_space:  global
        .offset:         56
        .size:           8
        .value_kind:     global_buffer
      - .address_space:  global
        .offset:         64
        .size:           8
        .value_kind:     global_buffer
      - .address_space:  global
        .offset:         72
        .size:           8
        .value_kind:     global_buffer
      - .offset:         80
        .size:           4
        .value_kind:     by_value
      - .offset:         84
        .size:           4
        .value_kind:     by_value
      - .offset:         88
        .size:           4
        .value_kind:     by_value
      - .offset:         92
        .size:           4
        .value_kind:     by_value
      - .address_space:  global
        .offset:         96
        .size:           8
        .value_kind:     global_buffer
    .group_segment_fixed_size: 0
    .kernarg_segment_align: 8
    .kernarg_segment_size: 104
    .language:       OpenCL C
    .language_version:
      - 2
      - 0
    .max_flat_workgroup_size: 256
    .name:           _ZN9rocsparseL25check_matrix_gebsr_deviceILj256EfllEEv20rocsparse_direction_T2_S2_T1_S2_S2_PKT0_PKS3_PKS2_SA_21rocsparse_index_base_22rocsparse_matrix_type_20rocsparse_fill_mode_23rocsparse_storage_mode_P22rocsparse_data_status_
    .private_segment_fixed_size: 0
    .sgpr_count:     56
    .sgpr_spill_count: 0
    .symbol:         _ZN9rocsparseL25check_matrix_gebsr_deviceILj256EfllEEv20rocsparse_direction_T2_S2_T1_S2_S2_PKT0_PKS3_PKS2_SA_21rocsparse_index_base_22rocsparse_matrix_type_20rocsparse_fill_mode_23rocsparse_storage_mode_P22rocsparse_data_status_.kd
    .uniform_work_group_size: 1
    .uses_dynamic_stack: false
    .vgpr_count:     22
    .vgpr_spill_count: 0
    .wavefront_size: 32
    .workgroup_processor_mode: 1
  - .args:
      - .offset:         0
        .size:           4
        .value_kind:     by_value
      - .offset:         8
        .size:           8
        .value_kind:     by_value
      - .offset:         16
        .size:           8
        .value_kind:     by_value
      - .offset:         24
        .size:           8
        .value_kind:     by_value
      - .offset:         32
        .size:           8
        .value_kind:     by_value
      - .offset:         40
        .size:           8
        .value_kind:     by_value
      - .actual_access:  read_only
        .address_space:  global
        .offset:         48
        .size:           8
        .value_kind:     global_buffer
      - .actual_access:  read_only
        .address_space:  global
        .offset:         56
        .size:           8
        .value_kind:     global_buffer
      - .address_space:  global
        .offset:         64
        .size:           8
        .value_kind:     global_buffer
      - .address_space:  global
        .offset:         72
        .size:           8
        .value_kind:     global_buffer
      - .offset:         80
        .size:           4
        .value_kind:     by_value
      - .offset:         84
        .size:           4
        .value_kind:     by_value
      - .offset:         88
        .size:           4
        .value_kind:     by_value
      - .offset:         92
        .size:           4
        .value_kind:     by_value
      - .address_space:  global
        .offset:         96
        .size:           8
        .value_kind:     global_buffer
    .group_segment_fixed_size: 0
    .kernarg_segment_align: 8
    .kernarg_segment_size: 104
    .language:       OpenCL C
    .language_version:
      - 2
      - 0
    .max_flat_workgroup_size: 256
    .name:           _ZN9rocsparseL25check_matrix_gebsr_deviceILj256EdllEEv20rocsparse_direction_T2_S2_T1_S2_S2_PKT0_PKS3_PKS2_SA_21rocsparse_index_base_22rocsparse_matrix_type_20rocsparse_fill_mode_23rocsparse_storage_mode_P22rocsparse_data_status_
    .private_segment_fixed_size: 0
    .sgpr_count:     56
    .sgpr_spill_count: 0
    .symbol:         _ZN9rocsparseL25check_matrix_gebsr_deviceILj256EdllEEv20rocsparse_direction_T2_S2_T1_S2_S2_PKT0_PKS3_PKS2_SA_21rocsparse_index_base_22rocsparse_matrix_type_20rocsparse_fill_mode_23rocsparse_storage_mode_P22rocsparse_data_status_.kd
    .uniform_work_group_size: 1
    .uses_dynamic_stack: false
    .vgpr_count:     23
    .vgpr_spill_count: 0
    .wavefront_size: 32
    .workgroup_processor_mode: 1
  - .args:
      - .offset:         0
        .size:           4
        .value_kind:     by_value
      - .offset:         8
        .size:           8
        .value_kind:     by_value
      - .offset:         16
        .size:           8
        .value_kind:     by_value
      - .offset:         24
        .size:           8
        .value_kind:     by_value
      - .offset:         32
        .size:           8
        .value_kind:     by_value
      - .offset:         40
        .size:           8
        .value_kind:     by_value
      - .actual_access:  read_only
        .address_space:  global
        .offset:         48
        .size:           8
        .value_kind:     global_buffer
      - .actual_access:  read_only
        .address_space:  global
        .offset:         56
        .size:           8
        .value_kind:     global_buffer
      - .address_space:  global
        .offset:         64
        .size:           8
        .value_kind:     global_buffer
      - .address_space:  global
        .offset:         72
        .size:           8
        .value_kind:     global_buffer
      - .offset:         80
        .size:           4
        .value_kind:     by_value
      - .offset:         84
        .size:           4
        .value_kind:     by_value
      - .offset:         88
        .size:           4
        .value_kind:     by_value
      - .offset:         92
        .size:           4
        .value_kind:     by_value
      - .address_space:  global
        .offset:         96
        .size:           8
        .value_kind:     global_buffer
    .group_segment_fixed_size: 0
    .kernarg_segment_align: 8
    .kernarg_segment_size: 104
    .language:       OpenCL C
    .language_version:
      - 2
      - 0
    .max_flat_workgroup_size: 256
    .name:           _ZN9rocsparseL25check_matrix_gebsr_deviceILj256E21rocsparse_complex_numIfEllEEv20rocsparse_direction_T2_S4_T1_S4_S4_PKT0_PKS5_PKS4_SC_21rocsparse_index_base_22rocsparse_matrix_type_20rocsparse_fill_mode_23rocsparse_storage_mode_P22rocsparse_data_status_
    .private_segment_fixed_size: 0
    .sgpr_count:     57
    .sgpr_spill_count: 0
    .symbol:         _ZN9rocsparseL25check_matrix_gebsr_deviceILj256E21rocsparse_complex_numIfEllEEv20rocsparse_direction_T2_S4_T1_S4_S4_PKT0_PKS5_PKS4_SC_21rocsparse_index_base_22rocsparse_matrix_type_20rocsparse_fill_mode_23rocsparse_storage_mode_P22rocsparse_data_status_.kd
    .uniform_work_group_size: 1
    .uses_dynamic_stack: false
    .vgpr_count:     23
    .vgpr_spill_count: 0
    .wavefront_size: 32
    .workgroup_processor_mode: 1
  - .args:
      - .offset:         0
        .size:           4
        .value_kind:     by_value
      - .offset:         8
        .size:           8
        .value_kind:     by_value
      - .offset:         16
        .size:           8
        .value_kind:     by_value
      - .offset:         24
        .size:           8
        .value_kind:     by_value
      - .offset:         32
        .size:           8
        .value_kind:     by_value
      - .offset:         40
        .size:           8
        .value_kind:     by_value
      - .actual_access:  read_only
        .address_space:  global
        .offset:         48
        .size:           8
        .value_kind:     global_buffer
      - .actual_access:  read_only
        .address_space:  global
        .offset:         56
        .size:           8
        .value_kind:     global_buffer
      - .address_space:  global
        .offset:         64
        .size:           8
        .value_kind:     global_buffer
      - .address_space:  global
        .offset:         72
        .size:           8
        .value_kind:     global_buffer
      - .offset:         80
        .size:           4
        .value_kind:     by_value
      - .offset:         84
        .size:           4
        .value_kind:     by_value
      - .offset:         88
        .size:           4
        .value_kind:     by_value
      - .offset:         92
        .size:           4
        .value_kind:     by_value
      - .address_space:  global
        .offset:         96
        .size:           8
        .value_kind:     global_buffer
    .group_segment_fixed_size: 0
    .kernarg_segment_align: 8
    .kernarg_segment_size: 104
    .language:       OpenCL C
    .language_version:
      - 2
      - 0
    .max_flat_workgroup_size: 256
    .name:           _ZN9rocsparseL25check_matrix_gebsr_deviceILj256E21rocsparse_complex_numIdEllEEv20rocsparse_direction_T2_S4_T1_S4_S4_PKT0_PKS5_PKS4_SC_21rocsparse_index_base_22rocsparse_matrix_type_20rocsparse_fill_mode_23rocsparse_storage_mode_P22rocsparse_data_status_
    .private_segment_fixed_size: 0
    .sgpr_count:     57
    .sgpr_spill_count: 0
    .symbol:         _ZN9rocsparseL25check_matrix_gebsr_deviceILj256E21rocsparse_complex_numIdEllEEv20rocsparse_direction_T2_S4_T1_S4_S4_PKT0_PKS5_PKS4_SC_21rocsparse_index_base_22rocsparse_matrix_type_20rocsparse_fill_mode_23rocsparse_storage_mode_P22rocsparse_data_status_.kd
    .uniform_work_group_size: 1
    .uses_dynamic_stack: false
    .vgpr_count:     25
    .vgpr_spill_count: 0
    .wavefront_size: 32
    .workgroup_processor_mode: 1
amdhsa.target:   amdgcn-amd-amdhsa--gfx1100
amdhsa.version:
  - 1
  - 2
...

	.end_amdgpu_metadata
